;; amdgpu-corpus repo=ROCm/aiter kind=harvested arch=n/a opt=n/a

/root/src/amdgpu-assembly/repos/ROCm__aiter/hsa/gfx950/fmoe/silu/fmoe_fp16_blockscaleFp8_g1u1_novs_silu_1tg_ps_32x256.co:	file format elf64-amdgpu

Disassembly of section .text:

0000000000002e00 <_ZN5aiter52fmoe_fp16_blockscaleFp8_g1u1_novs_silu_1tg_ps_32x256E>:
	v_lshrrev_b32_e32 v1, 10, v0                               // 000000002E00: 2002008A
	v_lshrrev_b32_e32 v2, 10, v1                               // 000000002E04: 2004028A
	v_and_b32_e32 v2, 0x3ff, v2                                // 000000002E08: 260404FF 000003FF
	v_and_b32_e32 v1, 0x3ff, v1                                // 000000002E10: 260202FF 000003FF
	v_and_b32_e32 v0, 0x3ff, v0                                // 000000002E18: 260000FF 000003FF
	v_lshrrev_b32_e32 v3, 6, v0                                // 000000002E20: 20060086
	v_and_b32_e32 v0, 63, v0                                   // 000000002E24: 260000BF
	s_mov_b32 s2, s2                                           // 000000002E28: BE820002
	s_mov_b32 s3, s3                                           // 000000002E2C: BE830003
	s_mov_b32 s4, s4                                           // 000000002E30: BE840004
	s_mov_b32 s99, s2                                          // 000000002E34: BEE30002
	v_readfirstlane_b32 s7, v3                                 // 000000002E38: 7E0E0503
	s_and_b32 s1, s1, 0xffff                                   // 000000002E3C: 8601FF01 0000FFFF
	s_mov_b32 s96, 0                                           // 000000002E44: BEE00080
	s_mov_b32 s97, 0                                           // 000000002E48: BEE10080
	s_mov_b32 s100, 0                                          // 000000002E4C: BEE40080
	s_load_dword s96, s[0:1], 0x1a0                            // 000000002E50: C0021800 000001A0
	s_load_dword s97, s[0:1], 0x1b0                            // 000000002E58: C0021840 000001B0
	s_waitcnt lgkmcnt(0)                                       // 000000002E60: BF8CC07F
	s_cmp_eq_u32 s96, 0                                        // 000000002E64: BF068060
	s_cbranch_scc1 label_005C                                  // 000000002E68: BF850041
	v_cvt_f32_u32_e32 v56, s97                                 // 000000002E6C: 7E700C61
	s_sub_i32 s60, 0, s97                                      // 000000002E70: 81BC6180
	v_rcp_iflag_f32_e32 v56, v56                               // 000000002E74: 7E704738
	s_nop 0                                                    // 000000002E78: BF800000
	v_mul_f32_e32 v56, 0x4f7ffffe, v56                         // 000000002E7C: 0A7070FF 4F7FFFFE
	v_cvt_u32_f32_e32 v56, v56                                 // 000000002E84: 7E700F38
	v_mul_lo_u32 v57, s60, v56                                 // 000000002E88: D2850039 0002703C
	v_mul_hi_u32 v57, v56, v57                                 // 000000002E90: D2860039 00027338
	v_add_u32_e32 v56, v56, v57                                // 000000002E98: 68707338
	v_mul_hi_u32 v56, s96, v56                                 // 000000002E9C: D2860038 00027060
	v_mul_lo_u32 v57, v56, s97                                 // 000000002EA4: D2850039 0000C338
	v_sub_u32_e32 v59, s96, v57                                // 000000002EAC: 6A767260
	v_add_u32_e32 v58, 1, v56                                  // 000000002EB0: 68747081
	v_cmp_le_u32_e32 vcc, s97, v59                             // 000000002EB4: 7D967661
	v_subrev_u32_e32 v57, s97, v59                             // 000000002EB8: 6C727661
	s_nop 0                                                    // 000000002EBC: BF800000
	v_cndmask_b32_e32 v56, v56, v58, vcc                       // 000000002EC0: 00707538
	v_cndmask_b32_e32 v59, v59, v57, vcc                       // 000000002EC4: 0076733B
	v_add_u32_e32 v57, 1, v56                                  // 000000002EC8: 68727081
	v_cmp_le_u32_e32 vcc, s97, v59                             // 000000002ECC: 7D967661
	s_nop 1                                                    // 000000002ED0: BF800001
	v_cndmask_b32_e32 v59, v56, v57, vcc                       // 000000002ED4: 00767338
	s_nop 3                                                    // 000000002ED8: BF800003
	v_readfirstlane_b32 s98, v59                               // 000000002EDC: 7EC4053B
	s_nop 3                                                    // 000000002EE0: BF800003

0000000000002ee4 <label_0039>:
	s_mov_b32 s4, 1                                            // 000000002EE4: BE840081
	v_cvt_f32_u32_e32 v56, s97                                 // 000000002EE8: 7E700C61
	s_sub_i32 s60, 0, s97                                      // 000000002EEC: 81BC6180
	v_rcp_iflag_f32_e32 v56, v56                               // 000000002EF0: 7E704738
	s_nop 0                                                    // 000000002EF4: BF800000
	v_mul_f32_e32 v56, 0x4f7ffffe, v56                         // 000000002EF8: 0A7070FF 4F7FFFFE
	v_cvt_u32_f32_e32 v56, v56                                 // 000000002F00: 7E700F38
	v_mul_lo_u32 v57, s60, v56                                 // 000000002F04: D2850039 0002703C
	v_mul_hi_u32 v57, v56, v57                                 // 000000002F0C: D2860039 00027338
	v_add_u32_e32 v56, v56, v57                                // 000000002F14: 68707338
	v_mul_hi_u32 v56, s99, v56                                 // 000000002F18: D2860038 00027063
	v_mul_lo_u32 v57, v56, s97                                 // 000000002F20: D2850039 0000C338
	v_sub_u32_e32 v59, s99, v57                                // 000000002F28: 6A767263
	v_add_u32_e32 v58, 1, v56                                  // 000000002F2C: 68747081
	v_cmp_le_u32_e32 vcc, s97, v59                             // 000000002F30: 7D967661
	v_subrev_u32_e32 v57, s97, v59                             // 000000002F34: 6C727661
	s_nop 0                                                    // 000000002F38: BF800000
	v_cndmask_b32_e32 v56, v56, v58, vcc                       // 000000002F3C: 00707538
	v_cndmask_b32_e32 v59, v59, v57, vcc                       // 000000002F40: 0076733B
	v_add_u32_e32 v57, 1, v56                                  // 000000002F44: 68727081
	v_cmp_le_u32_e32 vcc, s97, v59                             // 000000002F48: 7D967661
	s_nop 1                                                    // 000000002F4C: BF800001
	v_cndmask_b32_e32 v59, v56, v57, vcc                       // 000000002F50: 00767338
	s_nop 3                                                    // 000000002F54: BF800003
	v_readfirstlane_b32 s3, v59                                // 000000002F58: 7E06053B
	s_nop 3                                                    // 000000002F5C: BF800003
	s_mul_i32 s60, s3, s97                                     // 000000002F60: 923C6103
	s_sub_u32 s2, s99, s60                                     // 000000002F64: 80823C63
	s_mul_i32 s60, s98, s100                                   // 000000002F68: 923C6462
	s_add_i32 s3, s3, s60                                      // 000000002F6C: 81033C03

0000000000002f70 <label_005C>:
	s_and_b32 s1, s1, 0xffff                                   // 000000002F70: 8601FF01 0000FFFF
	s_load_dwordx2 s[8:9], s[0:1], 0x0                         // 000000002F78: C0060200 00000000
	s_load_dwordx2 s[20:21], s[0:1], 0x10                      // 000000002F80: C0060500 00000010
	s_load_dwordx2 s[24:25], s[0:1], 0x20                      // 000000002F88: C0060600 00000020
	s_load_dwordx2 s[50:51], s[0:1], 0x30                      // 000000002F90: C0060C80 00000030
	s_load_dwordx2 s[12:13], s[0:1], 0x40                      // 000000002F98: C0060300 00000040
	s_load_dwordx2 s[28:29], s[0:1], 0x50                      // 000000002FA0: C0060700 00000050
	s_load_dwordx2 s[32:33], s[0:1], 0x60                      // 000000002FA8: C0060800 00000060
	s_load_dwordx2 s[16:17], s[0:1], 0x70                      // 000000002FB0: C0060400 00000070
	s_load_dwordx2 s[36:37], s[0:1], 0x80                      // 000000002FB8: C0060900 00000080
	s_load_dwordx2 s[44:45], s[0:1], 0x90                      // 000000002FC0: C0060B00 00000090
	s_load_dwordx2 s[40:41], s[0:1], 0xa0                      // 000000002FC8: C0060A00 000000A0
	s_load_dwordx2 s[46:47], s[0:1], 0xb0                      // 000000002FD0: C0060B80 000000B0
	s_load_dword s64, s[0:1], 0xc0                             // 000000002FD8: C0021000 000000C0
	s_load_dword s65, s[0:1], 0xd0                             // 000000002FE0: C0021040 000000D0
	s_load_dword s67, s[0:1], 0xf0                             // 000000002FE8: C00210C0 000000F0
	s_load_dword s68, s[0:1], 0x100                            // 000000002FF0: C0021100 00000100
	s_load_dword s69, s[0:1], 0x110                            // 000000002FF8: C0021140 00000110
	s_load_dword s70, s[0:1], 0x120                            // 000000003000: C0021180 00000120
	s_load_dword s71, s[0:1], 0x130                            // 000000003008: C00211C0 00000130
	s_load_dword s72, s[0:1], 0x140                            // 000000003010: C0021200 00000140
	s_load_dword s73, s[0:1], 0x150                            // 000000003018: C0021240 00000150
	s_load_dword s74, s[0:1], 0x160                            // 000000003020: C0021280 00000160
	s_load_dword s75, s[0:1], 0x170                            // 000000003028: C00212C0 00000170
	s_load_dword s76, s[0:1], 0x180                            // 000000003030: C0021300 00000180
	s_mov_b32 s2, s2                                           // 000000003038: BE820002
	s_mov_b32 s3, s3                                           // 00000000303C: BE830003
	s_mov_b32 s4, s4                                           // 000000003040: BE840004
	s_waitcnt lgkmcnt(0)                                       // 000000003044: BF8CC07F
	s_and_b32 s51, s51, 0xffff                                 // 000000003048: 8633FF33 0000FFFF
	s_load_dword s66, s[50:51], 0x4                            // 000000003050: C0021099 00000004
	s_load_dword s50, s[50:51], 0x0                            // 000000003058: C0020C99 00000000
	s_waitcnt lgkmcnt(0)                                       // 000000003060: BF8CC07F
	s_and_b32 s45, s45, 0xffff                                 // 000000003064: 862DFF2D 0000FFFF
	s_and_b32 s47, s47, 0xffff                                 // 00000000306C: 862FFF2F 0000FFFF
	s_and_b32 s9, s9, 0xffff                                   // 000000003074: 8609FF09 0000FFFF
	s_mul_i32 s60, s66, s68                                    // 00000000307C: 923C4442
	s_mul_i32 s61, s66, 4                                      // 000000003080: 923D8442
	s_mov_b32 s22, s60                                         // 000000003084: BE96003C
	s_mov_b32 s26, -16                                         // 000000003088: BE9A00D0
	s_mov_b32 s14, -16                                         // 00000000308C: BE8E00D0
	s_mov_b32 s42, -16                                         // 000000003090: BEAA00D0
	s_mov_b32 s30, -16                                         // 000000003094: BE9E00D0
	s_mov_b32 s34, -16                                         // 000000003098: BEA200D0
	s_mov_b32 s38, -16                                         // 00000000309C: BEA600D0
	s_mov_b32 s18, -16                                         // 0000000030A0: BE9200D0
	s_mov_b32 s23, 0x20000                                     // 0000000030A4: BE9700FF 00020000
	s_mov_b32 s27, 0x20000                                     // 0000000030AC: BE9B00FF 00020000
	s_mov_b32 s15, 0x20000                                     // 0000000030B4: BE8F00FF 00020000
	s_mov_b32 s43, 0x20000                                     // 0000000030BC: BEAB00FF 00020000
	s_mov_b32 s31, 0x20000                                     // 0000000030C4: BE9F00FF 00020000
	s_mov_b32 s35, 0x20000                                     // 0000000030CC: BEA300FF 00020000
	s_mov_b32 s39, 0x20000                                     // 0000000030D4: BEA700FF 00020000
	s_mov_b32 s19, 0x20000                                     // 0000000030DC: BE9300FF 00020000
	s_and_b32 s21, s21, 0xffff                                 // 0000000030E4: 8615FF15 0000FFFF
	s_and_b32 s25, s25, 0xffff                                 // 0000000030EC: 8619FF19 0000FFFF
	s_and_b32 s13, s13, 0xffff                                 // 0000000030F4: 860DFF0D 0000FFFF
	s_and_b32 s41, s41, 0xffff                                 // 0000000030FC: 8629FF29 0000FFFF
	s_and_b32 s29, s29, 0xffff                                 // 000000003104: 861DFF1D 0000FFFF
	s_and_b32 s33, s33, 0xffff                                 // 00000000310C: 8621FF21 0000FFFF
	s_and_b32 s37, s37, 0xffff                                 // 000000003114: 8625FF25 0000FFFF
	s_and_b32 s17, s17, 0xffff                                 // 00000000311C: 8611FF11 0000FFFF
	s_or_b32 s21, s21, 0x40000                                 // 000000003124: 8715FF15 00040000
	s_or_b32 s25, s25, 0x40000                                 // 00000000312C: 8719FF19 00040000
	s_or_b32 s13, s13, 0x40000                                 // 000000003134: 870DFF0D 00040000
	s_or_b32 s41, s41, 0x40000                                 // 00000000313C: 8729FF29 00040000
	s_or_b32 s29, s29, 0x40000                                 // 000000003144: 871DFF1D 00040000
	s_or_b32 s33, s33, 0x40000                                 // 00000000314C: 8721FF21 00040000
	s_or_b32 s37, s37, 0x40000                                 // 000000003154: 8725FF25 00040000
	s_or_b32 s17, s17, 0x40000                                 // 00000000315C: 8711FF11 00040000
	v_accvgpr_write_b32 a127, 0                                // 000000003164: D3D9407F 18000080
	v_mov_b32_e32 v255, 0                                      // 00000000316C: 7FFE0280
	s_waitcnt lgkmcnt(0)                                       // 000000003170: BF8CC07F
	s_mul_i32 s60, s3, 32                                      // 000000003174: 923CA003
	s_cmp_lt_i32 s60, s50                                      // 000000003178: BF04323C
	s_cbranch_scc0 label_1A93                                  // 00000000317C: BF8419B3
	s_mov_b32 s80, 0                                           // 000000003180: BED00080
	s_mov_b32 s81, s64                                         // 000000003184: BED10040
	s_mul_i32 s60, s3, 4                                       // 000000003188: 923C8403
	s_add_u32 s46, s60, s46                                    // 00000000318C: 802E2E3C
	s_addc_u32 s47, 0, s47                                     // 000000003190: 822F2F80
	s_load_dword s5, s[46:47], 0x0                             // 000000003194: C0020157 00000000
	s_mul_i32 s60, s3, 32                                      // 00000000319C: 923CA003
	s_mul_i32 s60, 4, s60                                      // 0000000031A0: 923C3C84
	v_and_b32_e32 v56, 15, v0                                  // 0000000031A4: 2670008F
	v_lshlrev_b32_e32 v56, 2, v56                              // 0000000031A8: 24707082
	v_add_u32_e32 v56, s60, v56                                // 0000000031AC: 6870703C
	v_mov_b32_e32 v57, 0                                       // 0000000031B0: 7E720280
	global_load_dword v7, v56, s[44:45]                        // 0000000031B4: DC508000 072C0038
	v_add_u32_e32 v56, 64, v56                                 // 0000000031BC: 687070C0
	global_load_dword v8, v56, s[44:45]                        // 0000000031C0: DC508000 082C0038
	s_mul_i32 s60, s3, 32                                      // 0000000031C8: 923CA003
	s_add_u32 s60, s7, s60                                     // 0000000031CC: 803C3C07
	s_mul_i32 s60, 4, s60                                      // 0000000031D0: 923C3C84
	s_add_u32 s44, s60, s44                                    // 0000000031D4: 802C2C3C
	s_addc_u32 s45, 0, s45                                     // 0000000031D8: 822D2D80
	s_load_dword s82, s[44:45], 0x0                            // 0000000031DC: C0021496 00000000
	s_load_dword s83, s[44:45], 0x10                           // 0000000031E4: C00214D6 00000010
	s_load_dword s84, s[44:45], 0x20                           // 0000000031EC: C0021516 00000020
	s_load_dword s85, s[44:45], 0x30                           // 0000000031F4: C0021556 00000030
	s_load_dword s86, s[44:45], 0x40                           // 0000000031FC: C0021596 00000040
	s_load_dword s87, s[44:45], 0x50                           // 000000003204: C00215D6 00000050
	s_load_dword s88, s[44:45], 0x60                           // 00000000320C: C0021616 00000060
	s_load_dword s89, s[44:45], 0x70                           // 000000003214: C0021656 00000070
	s_waitcnt lgkmcnt(0)                                       // 00000000321C: BF8CC07F
	v_lshlrev_b32_e32 v56, 2, v0                               // 000000003220: 24700082
	s_and_b32 s82, s82, 0xffffff                               // 000000003224: 8652FF52 00FFFFFF
	s_mul_i32 s60, s82, s68                                    // 00000000322C: 923C4452
	v_add_u32_e64 v36, v56, s60                                // 000000003230: D1340024 00007938
	s_and_b32 s83, s83, 0xffffff                               // 000000003238: 8653FF53 00FFFFFF
	s_mul_i32 s60, s83, s68                                    // 000000003240: 923C4453
	v_add_u32_e64 v37, v56, s60                                // 000000003244: D1340025 00007938
	s_and_b32 s84, s84, 0xffffff                               // 00000000324C: 8654FF54 00FFFFFF
	s_mul_i32 s60, s84, s68                                    // 000000003254: 923C4454
	v_add_u32_e64 v38, v56, s60                                // 000000003258: D1340026 00007938
	s_and_b32 s85, s85, 0xffffff                               // 000000003260: 8655FF55 00FFFFFF
	s_mul_i32 s60, s85, s68                                    // 000000003268: 923C4455
	v_add_u32_e64 v39, v56, s60                                // 00000000326C: D1340027 00007938
	s_and_b32 s86, s86, 0xffffff                               // 000000003274: 8656FF56 00FFFFFF
	s_mul_i32 s60, s86, s68                                    // 00000000327C: 923C4456
	v_add_u32_e64 v40, v56, s60                                // 000000003280: D1340028 00007938
	s_and_b32 s87, s87, 0xffffff                               // 000000003288: 8657FF57 00FFFFFF
	s_mul_i32 s60, s87, s68                                    // 000000003290: 923C4457
	v_add_u32_e64 v41, v56, s60                                // 000000003294: D1340029 00007938
	s_and_b32 s88, s88, 0xffffff                               // 00000000329C: 8658FF58 00FFFFFF
	s_mul_i32 s60, s88, s68                                    // 0000000032A4: 923C4458
	v_add_u32_e64 v42, v56, s60                                // 0000000032A8: D134002A 00007938
	s_and_b32 s89, s89, 0xffffff                               // 0000000032B0: 8659FF59 00FFFFFF
	s_mul_i32 s60, s89, s68                                    // 0000000032B8: 923C4459
	v_add_u32_e64 v43, v56, s60                                // 0000000032BC: D134002B 00007938
	v_lshlrev_b32_e32 v56, 2, v0                               // 0000000032C4: 24700082
	s_mul_i32 s60, s82, s71                                    // 0000000032C8: 923C4752
	v_add_u32_e64 v80, v56, s60                                // 0000000032CC: D1340050 00007938
	v_mov_b32_e32 v81, 0                                       // 0000000032D4: 7EA20280
	s_mul_i32 s60, s83, s71                                    // 0000000032D8: 923C4753
	v_add_u32_e64 v82, v56, s60                                // 0000000032DC: D1340052 00007938
	v_mov_b32_e32 v83, 0                                       // 0000000032E4: 7EA60280
	s_mul_i32 s60, s84, s71                                    // 0000000032E8: 923C4754
	v_add_u32_e64 v84, v56, s60                                // 0000000032EC: D1340054 00007938
	v_mov_b32_e32 v85, 0                                       // 0000000032F4: 7EAA0280
	s_mul_i32 s60, s85, s71                                    // 0000000032F8: 923C4755
	v_add_u32_e64 v86, v56, s60                                // 0000000032FC: D1340056 00007938
	v_mov_b32_e32 v87, 0                                       // 000000003304: 7EAE0280
	s_mul_i32 s60, s86, s71                                    // 000000003308: 923C4756
	v_add_u32_e64 v88, v56, s60                                // 00000000330C: D1340058 00007938
	v_mov_b32_e32 v89, 0                                       // 000000003314: 7EB20280
	s_mul_i32 s60, s87, s71                                    // 000000003318: 923C4757
	v_add_u32_e64 v90, v56, s60                                // 00000000331C: D134005A 00007938
	v_mov_b32_e32 v91, 0                                       // 000000003324: 7EB60280
	s_mul_i32 s60, s88, s71                                    // 000000003328: 923C4758
	v_add_u32_e64 v92, v56, s60                                // 00000000332C: D134005C 00007938
	v_mov_b32_e32 v93, 0                                       // 000000003334: 7EBA0280
	s_mul_i32 s60, s89, s71                                    // 000000003338: 923C4759
	v_add_u32_e64 v94, v56, s60                                // 00000000333C: D134005E 00007938
	v_mov_b32_e32 v95, 0                                       // 000000003344: 7EBE0280
	s_mul_i32 s60, s7, 0x820                                   // 000000003348: 923CFF07 00000820
	s_add_u32 s50, 0, s60                                      // 000000003350: 80323C80
	s_add_u32 s51, 0x2480, s50                                 // 000000003354: 803332FF 00002480
	v_lshrrev_b32_e32 v56, 4, v0                               // 00000000335C: 20700084
	v_lshlrev_b32_e32 v57, 2, v56                              // 000000003360: 24727082
	v_and_b32_e32 v56, 15, v0                                  // 000000003364: 2670008F
	v_lshrrev_b32_e32 v58, 2, v56                              // 000000003368: 20747082
	v_lshlrev_b32_e32 v58, 6, v58                              // 00000000336C: 24747486
	v_add_u32_e32 v57, v58, v57                                // 000000003370: 6872733A
	v_and_b32_e32 v56, 3, v0                                   // 000000003374: 26700083
	v_mul_i32_i24_e32 v58, 0x208, v56                          // 000000003378: 0C7470FF 00000208
	v_add_u32_e32 v57, v58, v57                                // 000000003380: 6872733A
	v_lshlrev_b32_e32 v2, 2, v57                               // 000000003384: 24047282
	s_mul_i32 s60, s2, 0x100                                   // 000000003388: 923CFF02 00000100
	s_mul_i32 s60, s60, s69                                    // 000000003390: 923C453C
	s_mul_i32 s61, s5, s72                                     // 000000003394: 923D4805
	s_add_u32 s60, s61, s60                                    // 000000003398: 803C3C3D
	s_add_u32 s24, s60, s24                                    // 00000000339C: 8018183C
	s_addc_u32 s25, 0, s25                                     // 0000000033A0: 82191980
	s_mul_i32 s60, s7, 16                                      // 0000000033A4: 923C9007
	s_mul_i32 s60, s60, s69                                    // 0000000033A8: 923C453C
	v_lshlrev_b32_e32 v44, 4, v0                               // 0000000033AC: 24580084
	v_add_u32_e32 v44, s60, v44                                // 0000000033B0: 6858583C
	s_mul_i32 s60, 64, s69                                     // 0000000033B4: 923C45C0
	v_add_u32_e32 v45, s60, v44                                // 0000000033B8: 685A583C
	v_add_u32_e32 v46, s60, v45                                // 0000000033BC: 685C5A3C
	v_add_u32_e32 v47, s60, v46                                // 0000000033C0: 685E5C3C
	s_mov_b32 s92, s24                                         // 0000000033C4: BEDC0018
	s_mov_b32 s93, s25                                         // 0000000033C8: BEDD0019
	s_mov_b32 s94, s26                                         // 0000000033CC: BEDE001A
	s_mov_b32 s95, s27                                         // 0000000033D0: BEDF001B
	s_mul_i32 s60, s69, s65                                    // 0000000033D4: 923C4145
	s_add_u32 s92, s60, s92                                    // 0000000033D8: 805C5C3C
	s_addc_u32 s93, 0, s93                                     // 0000000033DC: 825D5D80
	s_mul_i32 s60, s2, 0x1000                                  // 0000000033E0: 923CFF02 00001000
	s_mul_i32 s61, s5, s73                                     // 0000000033E8: 923D4905
	s_add_u32 s60, s61, s60                                    // 0000000033EC: 803C3C3D
	s_add_u32 s12, s60, s12                                    // 0000000033F0: 800C0C3C
	s_addc_u32 s13, 0, s13                                     // 0000000033F4: 820D0D80
	s_mul_i32 s60, s7, 16                                      // 0000000033F8: 923C9007
	s_mul_i32 s60, s60, s70                                    // 0000000033FC: 923C463C
	v_lshlrev_b32_e32 v48, 4, v0                               // 000000003400: 24600084
	v_add_u32_e32 v48, s60, v48                                // 000000003404: 6860603C
	s_mul_i32 s60, 64, s70                                     // 000000003408: 923C46C0
	v_add_u32_e32 v49, s60, v48                                // 00000000340C: 6862603C
	v_add_u32_e32 v50, s60, v49                                // 000000003410: 6864623C
	v_add_u32_e32 v51, s60, v50                                // 000000003414: 6866643C
	s_mul_i32 s60, s70, 0x100                                  // 000000003418: 923CFF46 00000100
	s_mov_b32 s78, 0x400                                       // 000000003420: BECE00FF 00000400
	s_mul_i32 s61, s78, 3                                      // 000000003428: 923D834E
	s_sub_u32 s56, s60, s61                                    // 00000000342C: 80B83D3C
	s_mul_i32 s60, s3, 32                                      // 000000003430: 923CA003
	s_mul_i32 s60, 4, s60                                      // 000000003434: 923C3C84
	s_add_u32 s40, s60, s40                                    // 000000003438: 8028283C
	s_addc_u32 s41, 0, s41                                     // 00000000343C: 82292980
	v_and_b32_e32 v56, 15, v0                                  // 000000003440: 2670008F
	v_lshlrev_b32_e32 v9, 2, v56                               // 000000003444: 24127082
	v_add_u32_e32 v10, 64, v9                                  // 000000003448: 681412C0
	s_lshr_b32 s60, s64, 7                                     // 00000000344C: 8F3C8740
	s_mul_i32 s61, s60, 4                                      // 000000003450: 923D843C
	v_and_b32_e64 v11, v0, 1                                   // 000000003454: D113000B 00010300
	v_mul_i32_i24_e64 v11, v11, s61                            // 00000000345C: D106000B 00007B0B
	v_and_b32_e64 v56, v0, 3                                   // 000000003464: D1130038 00010700
	v_lshrrev_b32_e32 v56, 1, v56                              // 00000000346C: 20707081
	v_mul_i32_i24_e32 v56, 4, v56                              // 000000003470: 0C707084
	v_add_u32_e32 v11, v11, v56                                // 000000003474: 6816710B
	s_lshr_b32 s60, s65, 7                                     // 000000003478: 8F3C8741
	s_mul_i32 s60, s60, s61                                    // 00000000347C: 923C3D3C
	v_add_u32_e64 v13, v11, s60                                // 000000003480: D134000D 0000790B
	s_mov_b32 s4, 8                                            // 000000003488: BE840088
	s_mul_i32 s60, s2, 2                                       // 00000000348C: 923C8202
	s_mul_i32 s60, s60, s61                                    // 000000003490: 923C3D3C
	s_mul_i32 s61, s5, s74                                     // 000000003494: 923D4A05
	s_add_u32 s61, s61, s60                                    // 000000003498: 803D3C3D
	s_add_u32 s32, s61, s32                                    // 00000000349C: 8020203D
	s_addc_u32 s33, 0, s33                                     // 0000000034A0: 82212180
	s_lshr_b32 s60, s65, 7                                     // 0000000034A4: 8F3C8741
	s_mul_i32 s61, s60, 4                                      // 0000000034A8: 923D843C
	s_mul_i32 s60, s2, 2                                       // 0000000034AC: 923C8202
	s_mul_i32 s60, s60, 4                                      // 0000000034B0: 923C843C
	v_and_b32_e64 v6, v0, 1                                    // 0000000034B4: D1130006 00010300
	v_mul_i32_i24_e64 v6, v6, s61                              // 0000000034BC: D1060006 00007B06
	v_and_b32_e64 v56, v0, 3                                   // 0000000034C4: D1130038 00010700
	v_lshrrev_b32_e32 v56, 1, v56                              // 0000000034CC: 20707081
	v_mul_i32_i24_e32 v56, 4, v56                              // 0000000034D0: 0C707084
	v_add_i32 v6, v6, v56                                      // 0000000034D4: D29C0006 00027106
	v_add_i32 v6, v6, s60                                      // 0000000034DC: D29C0006 00007906
	s_mul_i32 s60, s5, s75                                     // 0000000034E4: 923C4B05
	s_add_u32 s16, s60, s16                                    // 0000000034E8: 8010103C
	s_addc_u32 s17, 0, s17                                     // 0000000034EC: 82111180
	s_mov_b32 s57, 0x100                                       // 0000000034F0: BEB900FF 00000100
	s_mov_b32 s58, 0x1000                                      // 0000000034F8: BEBA00FF 00001000
	s_mul_i32 s79, 2, s61                                      // 000000003500: 924F3D82
	s_mov_b32 s59, 0                                           // 000000003504: BEBB0080
	s_mov_b32 s90, s58                                         // 000000003508: BEDA003A
	s_mov_b32 s52, 0x7060302                                   // 00000000350C: BEB400FF 07060302
	s_mov_b32 s53, 0x400                                       // 000000003514: BEB500FF 00000400
	s_mov_b32 s54, 0x40100                                     // 00000000351C: BEB600FF 00040100
	s_mov_b32 s55, 0x4020100                                   // 000000003524: BEB700FF 04020100
	s_mov_b32 s6, 0x3fb8aa3b                                   // 00000000352C: BE8600FF 3FB8AA3B
	s_mov_b32 s77, 0xbd92220c                                  // 000000003534: BECD00FF BD92220C
	s_mov_b32 m0, s50                                          // 00000000353C: BEFC0032
	v_mov_b32_e32 v1, 0xbfcc4231                               // 000000003540: 7E0202FF BFCC4231
	v_mov_b32_e32 v53, 0xffff0000                              // 000000003548: 7E6A02FF FFFF0000
	v_mov_b32_e32 v54, 0x7fff0000                              // 000000003550: 7E6C02FF 7FFF0000
	v_mov_b32_e32 v55, 0x7fff                                  // 000000003558: 7E6E02FF 00007FFF
	s_waitcnt vmcnt(0) expcnt(0) lgkmcnt(0)                    // 000000003560: BF8C0000
	v_and_b32_e32 v7, 0xffffff, v7                             // 000000003564: 260E0EFF 00FFFFFF
	v_and_b32_e32 v8, 0xffffff, v8                             // 00000000356C: 261010FF 00FFFFFF
	v_lshlrev_b32_e32 v7, 2, v7                                // 000000003574: 240E0E82
	v_lshlrev_b32_e32 v8, 2, v8                                // 000000003578: 24101082
	s_lshr_b32 s60, s7, 1                                      // 00000000357C: 8F3C8107
	s_lshl_b32 s3, s66, 2                                      // 000000003580: 8E038242
	s_mul_i32 s60, s60, s3                                     // 000000003584: 923C033C
	s_add_u32 s28, s28, s60                                    // 000000003588: 801C3C1C
	s_addc_u32 s29, 0, s29                                     // 00000000358C: 821D1D80
	s_mov_b32 s30, s3                                          // 000000003590: BE9E0003
	s_lshl_b32 s3, s3, 1                                       // 000000003594: 8E038103
	s_and_b32 s61, s7, 1                                       // 000000003598: 863D8107
	s_cmp_eq_u32 s61, 1                                        // 00000000359C: BF06813D
	s_cselect_b32 s60, 0, 1                                    // 0000000035A0: 853C8180
	v_mul_i32_i24_e64 v56, v7, s60                             // 0000000035A4: D1060038 00007907
	v_mul_i32_i24_e64 v57, v8, s61                             // 0000000035AC: D1060039 00007B08
	v_add_u32_e32 v56, v56, v57                                // 0000000035B4: 68707338
	v_mov_b32_e32 v7, v56                                      // 0000000035B8: 7E0E0338
	s_mul_i32 s60, s7, 0x100                                   // 0000000035BC: 923CFF07 00000100
	s_sub_u32 s61, 4, s7                                       // 0000000035C4: 80BD0784
	s_mul_i32 s61, s61, 0x820                                  // 0000000035C8: 923DFF3D 00000820
	s_add_u32 s76, s60, s61                                    // 0000000035D0: 804C3D3C
	v_lshlrev_b32_e32 v3, 2, v0                                // 0000000035D4: 24060082
	buffer_load_dword v23, v11, s[32:35], 0 offen              // 0000000035D8: E0501000 8008170B
	buffer_load_dword v25, v9, s[40:43], 0 offen               // 0000000035E0: E0501000 800A1909
	buffer_load_dword v26, v10, s[40:43], 0 offen              // 0000000035E8: E0501000 800A1A0A
	buffer_load_dword v36, s[20:23], 0 offen lds               // 0000000035F0: E0511000 80050024
	s_add_u32 m0, 0x100, s50                                   // 0000000035F8: 807C32FF 00000100
	buffer_load_dword v37, s[20:23], 0 offen lds               // 000000003600: E0511000 80050025
	s_add_u32 m0, 0x200, s50                                   // 000000003608: 807C32FF 00000200
	buffer_load_dword v38, s[20:23], 0 offen lds               // 000000003610: E0511000 80050026
	s_add_u32 m0, 0x300, s50                                   // 000000003618: 807C32FF 00000300
	;; [unrolled: 2-line block ×5, first 2 shown]
	buffer_load_dword v42, s[20:23], 0 offen lds               // 000000003650: E0511000 8005002A
	s_add_u32 m0, 0x700, s50                                   // 000000003658: 807C32FF 00000700
	buffer_load_dword v43, s[20:23], 0 offen lds               // 000000003660: E0511000 8005002B
	s_add_u32 m0, s50, s76                                     // 000000003668: 807C4C32
	buffer_load_dword v7, s[28:31], 0 offen lds                // 00000000366C: E0511000 80070007
	s_add_u32 m0, 0, s51                                       // 000000003674: 807C3380
	s_add_u32 s20, s57, s20                                    // 000000003678: 80141439
	s_addc_u32 s21, 0, s21                                     // 00000000367C: 82151580
	s_add_u32 s28, s3, s28                                     // 000000003680: 801C1C03
	s_addc_u32 s29, 0, s29                                     // 000000003684: 821D1D80
	buffer_load_dwordx4 a[0:3], v44, s[24:27], 0 offen         // 000000003688: E05C1000 8086002C
	buffer_load_dwordx4 a[4:7], v44, s[24:27], 0 offen offset:1024// 000000003690: E05C1400 8086042C
	buffer_load_dwordx4 a[16:19], v45, s[24:27], 0 offen       // 000000003698: E05C1000 8086102D
	buffer_load_dwordx4 a[20:23], v45, s[24:27], 0 offen offset:1024// 0000000036A0: E05C1400 8086142D
	buffer_load_dwordx4 a[32:35], v46, s[24:27], 0 offen       // 0000000036A8: E05C1000 8086202E
	buffer_load_dwordx4 a[36:39], v46, s[24:27], 0 offen offset:1024// 0000000036B0: E05C1400 8086242E
	buffer_load_dwordx4 a[48:51], v47, s[24:27], 0 offen       // 0000000036B8: E05C1000 8086302F
	buffer_load_dwordx4 a[52:55], v47, s[24:27], 0 offen offset:1024// 0000000036C0: E05C1400 8086342F
	buffer_load_dwordx4 a[8:11], v44, s[24:27], 0 offen offset:2048// 0000000036C8: E05C1800 8086082C
	buffer_load_dwordx4 a[12:15], v44, s[24:27], 0 offen offset:3072// 0000000036D0: E05C1C00 80860C2C
	buffer_load_dwordx4 a[24:27], v45, s[24:27], 0 offen offset:2048// 0000000036D8: E05C1800 8086182D
	buffer_load_dwordx4 a[28:31], v45, s[24:27], 0 offen offset:3072// 0000000036E0: E05C1C00 80861C2D
	buffer_load_dwordx4 a[40:43], v46, s[24:27], 0 offen offset:2048// 0000000036E8: E05C1800 8086282E
	buffer_load_dwordx4 a[44:47], v46, s[24:27], 0 offen offset:3072// 0000000036F0: E05C1C00 80862C2E
	buffer_load_dwordx4 a[56:59], v47, s[24:27], 0 offen offset:2048// 0000000036F8: E05C1800 8086382F
	buffer_load_dwordx4 a[60:63], v47, s[24:27], 0 offen offset:3072// 000000003700: E05C1C00 80863C2F
	s_add_u32 s24, s58, s24                                    // 000000003708: 8018183A
	s_addc_u32 s25, 0, s25                                     // 00000000370C: 82191980
	v_mov_b32_e32 v128, 0                                      // 000000003710: 7F000280
	v_mov_b32_e32 v64, 0                                       // 000000003714: 7E800280
	v_mov_b32_e32 v129, 0                                      // 000000003718: 7F020280
	v_mov_b32_e32 v65, 0                                       // 00000000371C: 7E820280
	v_mov_b32_e32 v130, 0                                      // 000000003720: 7F040280
	v_mov_b32_e32 v66, 0                                       // 000000003724: 7E840280
	v_mov_b32_e32 v131, 0                                      // 000000003728: 7F060280
	v_mov_b32_e32 v67, 0                                       // 00000000372C: 7E860280
	v_mov_b32_e32 v132, 0                                      // 000000003730: 7F080280
	v_mov_b32_e32 v68, 0                                       // 000000003734: 7E880280
	v_mov_b32_e32 v133, 0                                      // 000000003738: 7F0A0280
	v_mov_b32_e32 v69, 0                                       // 00000000373C: 7E8A0280
	v_mov_b32_e32 v134, 0                                      // 000000003740: 7F0C0280
	v_mov_b32_e32 v70, 0                                       // 000000003744: 7E8C0280
	v_mov_b32_e32 v135, 0                                      // 000000003748: 7F0E0280
	v_mov_b32_e32 v71, 0                                       // 00000000374C: 7E8E0280
	v_mov_b32_e32 v136, 0                                      // 000000003750: 7F100280
	v_mov_b32_e32 v72, 0                                       // 000000003754: 7E900280
	v_mov_b32_e32 v137, 0                                      // 000000003758: 7F120280
	v_mov_b32_e32 v73, 0                                       // 00000000375C: 7E920280
	v_mov_b32_e32 v138, 0                                      // 000000003760: 7F140280
	v_mov_b32_e32 v74, 0                                       // 000000003764: 7E940280
	v_mov_b32_e32 v139, 0                                      // 000000003768: 7F160280
	v_mov_b32_e32 v75, 0                                       // 00000000376C: 7E960280
	v_mov_b32_e32 v140, 0                                      // 000000003770: 7F180280
	v_mov_b32_e32 v76, 0                                       // 000000003774: 7E980280
	v_mov_b32_e32 v141, 0                                      // 000000003778: 7F1A0280
	v_mov_b32_e32 v77, 0                                       // 00000000377C: 7E9A0280
	v_mov_b32_e32 v142, 0                                      // 000000003780: 7F1C0280
	v_mov_b32_e32 v78, 0                                       // 000000003784: 7E9C0280
	v_mov_b32_e32 v143, 0                                      // 000000003788: 7F1E0280
	v_mov_b32_e32 v79, 0                                       // 00000000378C: 7E9E0280
	v_mov_b32_e32 v144, 0                                      // 000000003790: 7F200280
	v_mov_b32_e32 v80, 0                                       // 000000003794: 7EA00280
	v_mov_b32_e32 v145, 0                                      // 000000003798: 7F220280
	v_mov_b32_e32 v81, 0                                       // 00000000379C: 7EA20280
	v_mov_b32_e32 v146, 0                                      // 0000000037A0: 7F240280
	v_mov_b32_e32 v82, 0                                       // 0000000037A4: 7EA40280
	v_mov_b32_e32 v147, 0                                      // 0000000037A8: 7F260280
	v_mov_b32_e32 v83, 0                                       // 0000000037AC: 7EA60280
	v_mov_b32_e32 v148, 0                                      // 0000000037B0: 7F280280
	v_mov_b32_e32 v84, 0                                       // 0000000037B4: 7EA80280
	v_mov_b32_e32 v149, 0                                      // 0000000037B8: 7F2A0280
	v_mov_b32_e32 v85, 0                                       // 0000000037BC: 7EAA0280
	v_mov_b32_e32 v150, 0                                      // 0000000037C0: 7F2C0280
	v_mov_b32_e32 v86, 0                                       // 0000000037C4: 7EAC0280
	v_mov_b32_e32 v151, 0                                      // 0000000037C8: 7F2E0280
	v_mov_b32_e32 v87, 0                                       // 0000000037CC: 7EAE0280
	v_mov_b32_e32 v152, 0                                      // 0000000037D0: 7F300280
	v_mov_b32_e32 v88, 0                                       // 0000000037D4: 7EB00280
	v_mov_b32_e32 v153, 0                                      // 0000000037D8: 7F320280
	v_mov_b32_e32 v89, 0                                       // 0000000037DC: 7EB20280
	v_mov_b32_e32 v154, 0                                      // 0000000037E0: 7F340280
	v_mov_b32_e32 v90, 0                                       // 0000000037E4: 7EB40280
	v_mov_b32_e32 v155, 0                                      // 0000000037E8: 7F360280
	v_mov_b32_e32 v91, 0                                       // 0000000037EC: 7EB60280
	v_mov_b32_e32 v156, 0                                      // 0000000037F0: 7F380280
	v_mov_b32_e32 v92, 0                                       // 0000000037F4: 7EB80280
	v_mov_b32_e32 v157, 0                                      // 0000000037F8: 7F3A0280
	v_mov_b32_e32 v93, 0                                       // 0000000037FC: 7EBA0280
	v_mov_b32_e32 v158, 0                                      // 000000003800: 7F3C0280
	v_mov_b32_e32 v94, 0                                       // 000000003804: 7EBC0280
	v_mov_b32_e32 v159, 0                                      // 000000003808: 7F3E0280
	v_mov_b32_e32 v95, 0                                       // 00000000380C: 7EBE0280
	v_mov_b32_e32 v160, 0                                      // 000000003810: 7F400280
	v_mov_b32_e32 v96, 0                                       // 000000003814: 7EC00280
	v_mov_b32_e32 v161, 0                                      // 000000003818: 7F420280
	v_mov_b32_e32 v97, 0                                       // 00000000381C: 7EC20280
	v_mov_b32_e32 v162, 0                                      // 000000003820: 7F440280
	v_mov_b32_e32 v98, 0                                       // 000000003824: 7EC40280
	v_mov_b32_e32 v163, 0                                      // 000000003828: 7F460280
	v_mov_b32_e32 v99, 0                                       // 00000000382C: 7EC60280
	v_mov_b32_e32 v164, 0                                      // 000000003830: 7F480280
	v_mov_b32_e32 v100, 0                                      // 000000003834: 7EC80280
	v_mov_b32_e32 v165, 0                                      // 000000003838: 7F4A0280
	v_mov_b32_e32 v101, 0                                      // 00000000383C: 7ECA0280
	v_mov_b32_e32 v166, 0                                      // 000000003840: 7F4C0280
	v_mov_b32_e32 v102, 0                                      // 000000003844: 7ECC0280
	v_mov_b32_e32 v167, 0                                      // 000000003848: 7F4E0280
	v_mov_b32_e32 v103, 0                                      // 00000000384C: 7ECE0280
	v_mov_b32_e32 v168, 0                                      // 000000003850: 7F500280
	v_mov_b32_e32 v104, 0                                      // 000000003854: 7ED00280
	v_mov_b32_e32 v169, 0                                      // 000000003858: 7F520280
	v_mov_b32_e32 v105, 0                                      // 00000000385C: 7ED20280
	v_mov_b32_e32 v170, 0                                      // 000000003860: 7F540280
	v_mov_b32_e32 v106, 0                                      // 000000003864: 7ED40280
	v_mov_b32_e32 v171, 0                                      // 000000003868: 7F560280
	v_mov_b32_e32 v107, 0                                      // 00000000386C: 7ED60280
	v_mov_b32_e32 v172, 0                                      // 000000003870: 7F580280
	v_mov_b32_e32 v108, 0                                      // 000000003874: 7ED80280
	v_mov_b32_e32 v173, 0                                      // 000000003878: 7F5A0280
	v_mov_b32_e32 v109, 0                                      // 00000000387C: 7EDA0280
	v_mov_b32_e32 v174, 0                                      // 000000003880: 7F5C0280
	v_mov_b32_e32 v110, 0                                      // 000000003884: 7EDC0280
	v_mov_b32_e32 v175, 0                                      // 000000003888: 7F5E0280
	v_mov_b32_e32 v111, 0                                      // 00000000388C: 7EDE0280
	v_mov_b32_e32 v176, 0                                      // 000000003890: 7F600280
	v_mov_b32_e32 v112, 0                                      // 000000003894: 7EE00280
	v_mov_b32_e32 v177, 0                                      // 000000003898: 7F620280
	v_mov_b32_e32 v113, 0                                      // 00000000389C: 7EE20280
	v_mov_b32_e32 v178, 0                                      // 0000000038A0: 7F640280
	v_mov_b32_e32 v114, 0                                      // 0000000038A4: 7EE40280
	v_mov_b32_e32 v179, 0                                      // 0000000038A8: 7F660280
	v_mov_b32_e32 v115, 0                                      // 0000000038AC: 7EE60280
	v_mov_b32_e32 v180, 0                                      // 0000000038B0: 7F680280
	v_mov_b32_e32 v116, 0                                      // 0000000038B4: 7EE80280
	v_mov_b32_e32 v181, 0                                      // 0000000038B8: 7F6A0280
	v_mov_b32_e32 v117, 0                                      // 0000000038BC: 7EEA0280
	v_mov_b32_e32 v182, 0                                      // 0000000038C0: 7F6C0280
	v_mov_b32_e32 v118, 0                                      // 0000000038C4: 7EEC0280
	v_mov_b32_e32 v183, 0                                      // 0000000038C8: 7F6E0280
	v_mov_b32_e32 v119, 0                                      // 0000000038CC: 7EEE0280
	v_mov_b32_e32 v184, 0                                      // 0000000038D0: 7F700280
	v_mov_b32_e32 v120, 0                                      // 0000000038D4: 7EF00280
	v_mov_b32_e32 v185, 0                                      // 0000000038D8: 7F720280
	v_mov_b32_e32 v121, 0                                      // 0000000038DC: 7EF20280
	v_mov_b32_e32 v186, 0                                      // 0000000038E0: 7F740280
	v_mov_b32_e32 v122, 0                                      // 0000000038E4: 7EF40280
	v_mov_b32_e32 v187, 0                                      // 0000000038E8: 7F760280
	v_mov_b32_e32 v123, 0                                      // 0000000038EC: 7EF60280
	v_mov_b32_e32 v188, 0                                      // 0000000038F0: 7F780280
	v_mov_b32_e32 v124, 0                                      // 0000000038F4: 7EF80280
	v_mov_b32_e32 v189, 0                                      // 0000000038F8: 7F7A0280
	v_mov_b32_e32 v125, 0                                      // 0000000038FC: 7EFA0280
	v_mov_b32_e32 v190, 0                                      // 000000003900: 7F7C0280
	v_mov_b32_e32 v126, 0                                      // 000000003904: 7EFC0280
	v_mov_b32_e32 v191, 0                                      // 000000003908: 7F7E0280
	v_mov_b32_e32 v127, 0                                      // 00000000390C: 7EFE0280
	v_lshrrev_b32_e32 v56, 4, v0                               // 000000003910: 20700084
	v_mul_i32_i24_e32 v4, 34, v56                              // 000000003914: 0C0870A2
	v_and_b32_e32 v56, 15, v0                                  // 000000003918: 2670008F
	v_mul_i32_i24_e32 v57, 2, v56                              // 00000000391C: 0C727082
	v_add_u32_e32 v4, v57, v4                                  // 000000003920: 68080939
	s_mul_i32 s60, s7, 0x88                                    // 000000003924: 923CFF07 00000088
	v_add_u32_e32 v4, s60, v4                                  // 00000000392C: 6808083C
	v_lshlrev_b32_e32 v4, 2, v4                                // 000000003930: 24080882
	v_lshrrev_b32_e32 v56, 1, v0                               // 000000003934: 20700081
	v_mul_i32_i24_e32 v5, 34, v56                              // 000000003938: 0C0A70A2
	v_and_b32_e32 v57, 1, v0                                   // 00000000393C: 26720081
	v_add_u32_e32 v5, v57, v5                                  // 000000003940: 680A0B39
	s_mul_i32 s60, s7, 2                                       // 000000003944: 923C8207
	v_add_u32_e32 v5, s60, v5                                  // 000000003948: 680A0A3C
	v_lshlrev_b32_e32 v5, 2, v5                                // 00000000394C: 240A0A82
	s_waitcnt vmcnt(16)                                        // 000000003950: BF8C4F70
	s_barrier                                                  // 000000003954: BF8A0000
	ds_read_b128 v[192:195], v2                                // 000000003958: D9FE0000 C0000002
	ds_read_b128 v[196:199], v2 offset:64                      // 000000003960: D9FE0040 C4000002
	ds_read_b128 v[200:203], v2 offset:128                     // 000000003968: D9FE0080 C8000002
	ds_read_b128 v[204:207], v2 offset:192                     // 000000003970: D9FE00C0 CC000002
	ds_read_b128 v[208:211], v2 offset:1024                    // 000000003978: D9FE0400 D0000002
	ds_read_b128 v[212:215], v2 offset:1088                    // 000000003980: D9FE0440 D4000002
	ds_read_b128 v[216:219], v2 offset:1152                    // 000000003988: D9FE0480 D8000002
	ds_read_b128 v[220:223], v2 offset:1216                    // 000000003990: D9FE04C0 DC000002
	ds_read_b32 v15, v3 offset:8320                            // 000000003998: D86C2080 0F000003
	ds_read_b32 v16, v3 offset:8576                            // 0000000039A0: D86C2180 10000003
	ds_read_b32 v17, v3 offset:8832                            // 0000000039A8: D86C2280 11000003
	ds_read_b32 v18, v3 offset:9088                            // 0000000039B0: D86C2380 12000003
	s_cmp_lt_i32 s7, 2                                         // 0000000039B8: BF048207
	s_cbranch_scc0 label_0E18                                  // 0000000039BC: BF840B28

00000000000039c0 <label_02F0>:
	s_waitcnt vmcnt(8) lgkmcnt(0)                              // 0000000039C0: BF8C0078
	s_barrier                                                  // 0000000039C4: BF8A0000
	v_mfma_f32_16x16x32_fp8_fp8 v[160:163], a[0:1], v[192:193], 0// 0000000039C8: D3F300A0 0A038100
	v_mfma_f32_16x16x32_fp8_fp8 v[160:163], a[2:3], v[194:195], v[160:163]// 0000000039D0: D3F300A0 0E838502
	buffer_load_dwordx4 a[64:67], v44, s[92:95], 0 offen       // 0000000039D8: E05C1000 8097402C
	v_mfma_f32_16x16x32_fp8_fp8 v[160:163], a[4:5], v[196:197], v[160:163]// 0000000039E0: D3F300A0 0E838904
	v_mfma_f32_16x16x32_fp8_fp8 v[160:163], a[6:7], v[198:199], v[160:163]// 0000000039E8: D3F300A0 0E838D06
	buffer_load_dword v36, s[20:23], 0 offen lds               // 0000000039F0: E0511000 80050024
	s_add_u32 m0, 0x100, s51                                   // 0000000039F8: 807C33FF 00000100
	v_mfma_f32_16x16x32_fp8_fp8 v[164:167], a[0:1], v[208:209], 0// 000000003A00: D3F300A4 0A03A100
	v_mfma_f32_16x16x32_fp8_fp8 v[164:167], a[2:3], v[210:211], v[164:167]// 000000003A08: D3F300A4 0E93A502
	buffer_load_dwordx4 a[68:71], v44, s[92:95], 0 offen offset:1024// 000000003A10: E05C1400 8097442C
	v_mfma_f32_16x16x32_fp8_fp8 v[164:167], a[4:5], v[212:213], v[164:167]// 000000003A18: D3F300A4 0E93A904
	v_mfma_f32_16x16x32_fp8_fp8 v[164:167], a[6:7], v[214:215], v[164:167]// 000000003A20: D3F300A4 0E93AD06
	buffer_load_dword v37, s[20:23], 0 offen lds               // 000000003A28: E0511000 80050025
	s_add_u32 m0, 0x200, s51                                   // 000000003A30: 807C33FF 00000200
	v_mfma_f32_16x16x32_fp8_fp8 v[168:171], a[16:17], v[192:193], 0// 000000003A38: D3F300A8 0A038110
	v_mfma_f32_16x16x32_fp8_fp8 v[168:171], a[18:19], v[194:195], v[168:171]// 000000003A40: D3F300A8 0EA38512
	buffer_load_dwordx4 a[80:83], v45, s[92:95], 0 offen       // 000000003A48: E05C1000 8097502D
	v_mfma_f32_16x16x32_fp8_fp8 v[168:171], a[20:21], v[196:197], v[168:171]// 000000003A50: D3F300A8 0EA38914
	v_mfma_f32_16x16x32_fp8_fp8 v[168:171], a[22:23], v[198:199], v[168:171]// 000000003A58: D3F300A8 0EA38D16
	buffer_load_dword v38, s[20:23], 0 offen lds               // 000000003A60: E0511000 80050026
	s_add_u32 m0, 0x300, s51                                   // 000000003A68: 807C33FF 00000300
	v_mfma_f32_16x16x32_fp8_fp8 v[172:175], a[16:17], v[208:209], 0// 000000003A70: D3F300AC 0A03A110
	v_mfma_f32_16x16x32_fp8_fp8 v[172:175], a[18:19], v[210:211], v[172:175]// 000000003A78: D3F300AC 0EB3A512
	buffer_load_dwordx4 a[84:87], v45, s[92:95], 0 offen offset:1024// 000000003A80: E05C1400 8097542D
	v_mfma_f32_16x16x32_fp8_fp8 v[172:175], a[20:21], v[212:213], v[172:175]// 000000003A88: D3F300AC 0EB3A914
	v_mfma_f32_16x16x32_fp8_fp8 v[172:175], a[22:23], v[214:215], v[172:175]// 000000003A90: D3F300AC 0EB3AD16
	buffer_load_dword v39, s[20:23], 0 offen lds               // 000000003A98: E0511000 80050027
	s_add_u32 m0, 0x400, s51                                   // 000000003AA0: 807C33FF 00000400
	v_mfma_f32_16x16x32_fp8_fp8 v[176:179], a[32:33], v[192:193], 0// 000000003AA8: D3F300B0 0A038120
	v_mfma_f32_16x16x32_fp8_fp8 v[176:179], a[34:35], v[194:195], v[176:179]// 000000003AB0: D3F300B0 0EC38522
	buffer_load_dwordx4 a[96:99], v46, s[92:95], 0 offen       // 000000003AB8: E05C1000 8097602E
	v_mfma_f32_16x16x32_fp8_fp8 v[176:179], a[36:37], v[196:197], v[176:179]// 000000003AC0: D3F300B0 0EC38924
	v_mfma_f32_16x16x32_fp8_fp8 v[176:179], a[38:39], v[198:199], v[176:179]// 000000003AC8: D3F300B0 0EC38D26
	buffer_load_dword v40, s[20:23], 0 offen lds               // 000000003AD0: E0511000 80050028
	s_add_u32 m0, 0x500, s51                                   // 000000003AD8: 807C33FF 00000500
	v_mfma_f32_16x16x32_fp8_fp8 v[180:183], a[32:33], v[208:209], 0// 000000003AE0: D3F300B4 0A03A120
	v_mfma_f32_16x16x32_fp8_fp8 v[180:183], a[34:35], v[210:211], v[180:183]// 000000003AE8: D3F300B4 0ED3A522
	buffer_load_dwordx4 a[100:103], v46, s[92:95], 0 offen offset:1024// 000000003AF0: E05C1400 8097642E
	v_mfma_f32_16x16x32_fp8_fp8 v[180:183], a[36:37], v[212:213], v[180:183]// 000000003AF8: D3F300B4 0ED3A924
	v_mfma_f32_16x16x32_fp8_fp8 v[180:183], a[38:39], v[214:215], v[180:183]// 000000003B00: D3F300B4 0ED3AD26
	buffer_load_dword v41, s[20:23], 0 offen lds               // 000000003B08: E0511000 80050029
	s_add_u32 m0, 0x600, s51                                   // 000000003B10: 807C33FF 00000600
	v_mfma_f32_16x16x32_fp8_fp8 v[184:187], a[48:49], v[192:193], 0// 000000003B18: D3F300B8 0A038130
	v_mfma_f32_16x16x32_fp8_fp8 v[184:187], a[50:51], v[194:195], v[184:187]// 000000003B20: D3F300B8 0EE38532
	buffer_load_dwordx4 a[112:115], v47, s[92:95], 0 offen     // 000000003B28: E05C1000 8097702F
	v_mfma_f32_16x16x32_fp8_fp8 v[184:187], a[52:53], v[196:197], v[184:187]// 000000003B30: D3F300B8 0EE38934
	v_mfma_f32_16x16x32_fp8_fp8 v[184:187], a[54:55], v[198:199], v[184:187]// 000000003B38: D3F300B8 0EE38D36
	buffer_load_dword v42, s[20:23], 0 offen lds               // 000000003B40: E0511000 8005002A
	s_add_u32 m0, 0x700, s51                                   // 000000003B48: 807C33FF 00000700
	v_mfma_f32_16x16x32_fp8_fp8 v[188:191], a[48:49], v[208:209], 0// 000000003B50: D3F300BC 0A03A130
	v_mfma_f32_16x16x32_fp8_fp8 v[188:191], a[50:51], v[210:211], v[188:191]// 000000003B58: D3F300BC 0EF3A532
	buffer_load_dwordx4 a[116:119], v47, s[92:95], 0 offen offset:1024// 000000003B60: E05C1400 8097742F
	v_mfma_f32_16x16x32_fp8_fp8 v[188:191], a[52:53], v[212:213], v[188:191]// 000000003B68: D3F300BC 0EF3A934
	v_mfma_f32_16x16x32_fp8_fp8 v[188:191], a[54:55], v[214:215], v[188:191]// 000000003B70: D3F300BC 0EF3AD36
	buffer_load_dword v43, s[20:23], 0 offen lds               // 000000003B78: E0511000 8005002B
	s_add_u32 m0, s51, s76                                     // 000000003B80: 807C4C33
	buffer_load_dword v7, s[28:31], 0 offen lds                // 000000003B84: E0511000 80070007
	s_add_u32 m0, 0, s50                                       // 000000003B8C: 807C3280
	buffer_load_dword v24, v13, s[32:35], 0 offen              // 000000003B90: E0501000 8008180D
	v_mul_f32_dpp v56, v23, v15 row_newbcast:0 row_mask:0xf bank_mask:0xf// 000000003B98: 0A701EFA FF015017
	v_mov_b32_e32 v57, v56                                     // 000000003BA0: 7E720338
	v_pk_fma_f32 v[128:129], v[160:161], v[56:57], v[128:129]  // 000000003BA4: D3B04080 1E0271A0
	v_pk_fma_f32 v[130:131], v[162:163], v[56:57], v[130:131]  // 000000003BAC: D3B04082 1E0A71A2
	v_pk_fma_f32 v[136:137], v[168:169], v[56:57], v[136:137]  // 000000003BB4: D3B04088 1E2271A8
	v_pk_fma_f32 v[138:139], v[170:171], v[56:57], v[138:139]  // 000000003BBC: D3B0408A 1E2A71AA
	v_mul_f32_dpp v56, v23, v15 row_newbcast:1 row_mask:0xf bank_mask:0xf// 000000003BC4: 0A701EFA FF015117
	v_mov_b32_e32 v57, v56                                     // 000000003BCC: 7E720338
	v_pk_fma_f32 v[144:145], v[176:177], v[56:57], v[144:145]  // 000000003BD0: D3B04090 1E4271B0
	v_pk_fma_f32 v[146:147], v[178:179], v[56:57], v[146:147]  // 000000003BD8: D3B04092 1E4A71B2
	v_pk_fma_f32 v[152:153], v[184:185], v[56:57], v[152:153]  // 000000003BE0: D3B04098 1E6271B8
	v_pk_fma_f32 v[154:155], v[186:187], v[56:57], v[154:155]  // 000000003BE8: D3B0409A 1E6A71BA
	v_mul_f32_dpp v56, v23, v16 row_newbcast:0 row_mask:0xf bank_mask:0xf// 000000003BF0: 0A7020FA FF015017
	v_mov_b32_e32 v57, v56                                     // 000000003BF8: 7E720338
	v_pk_fma_f32 v[132:133], v[164:165], v[56:57], v[132:133]  // 000000003BFC: D3B04084 1E1271A4
	v_pk_fma_f32 v[134:135], v[166:167], v[56:57], v[134:135]  // 000000003C04: D3B04086 1E1A71A6
	v_pk_fma_f32 v[140:141], v[172:173], v[56:57], v[140:141]  // 000000003C0C: D3B0408C 1E3271AC
	v_pk_fma_f32 v[142:143], v[174:175], v[56:57], v[142:143]  // 000000003C14: D3B0408E 1E3A71AE
	v_mul_f32_dpp v56, v23, v16 row_newbcast:1 row_mask:0xf bank_mask:0xf// 000000003C1C: 0A7020FA FF015117
	v_mov_b32_e32 v57, v56                                     // 000000003C24: 7E720338
	v_pk_fma_f32 v[148:149], v[180:181], v[56:57], v[148:149]  // 000000003C28: D3B04094 1E5271B4
	v_pk_fma_f32 v[150:151], v[182:183], v[56:57], v[150:151]  // 000000003C30: D3B04096 1E5A71B6
	v_pk_fma_f32 v[156:157], v[188:189], v[56:57], v[156:157]  // 000000003C38: D3B0409C 1E7271BC
	v_pk_fma_f32 v[158:159], v[190:191], v[56:57], v[158:159]  // 000000003C40: D3B0409E 1E7A71BE
	s_waitcnt vmcnt(22)                                        // 000000003C48: BF8C4F76
	v_mfma_f32_16x16x32_fp8_fp8 v[160:163], a[8:9], v[200:201], 0// 000000003C4C: D3F300A0 0A039108
	v_mfma_f32_16x16x32_fp8_fp8 v[160:163], a[10:11], v[202:203], v[160:163]// 000000003C54: D3F300A0 0E83950A
	buffer_load_dwordx4 a[72:75], v44, s[92:95], 0 offen offset:2048// 000000003C5C: E05C1800 8097482C
	v_mfma_f32_16x16x32_fp8_fp8 v[160:163], a[12:13], v[204:205], v[160:163]// 000000003C64: D3F300A0 0E83990C
	v_mfma_f32_16x16x32_fp8_fp8 v[160:163], a[14:15], v[206:207], v[160:163]// 000000003C6C: D3F300A0 0E839D0E
	v_mfma_f32_16x16x32_fp8_fp8 v[164:167], a[8:9], v[216:217], 0// 000000003C74: D3F300A4 0A03B108
	v_mfma_f32_16x16x32_fp8_fp8 v[164:167], a[10:11], v[218:219], v[164:167]// 000000003C7C: D3F300A4 0E93B50A
	buffer_load_dwordx4 a[76:79], v44, s[92:95], 0 offen offset:3072// 000000003C84: E05C1C00 80974C2C
	v_mfma_f32_16x16x32_fp8_fp8 v[164:167], a[12:13], v[220:221], v[164:167]// 000000003C8C: D3F300A4 0E93B90C
	v_mfma_f32_16x16x32_fp8_fp8 v[164:167], a[14:15], v[222:223], v[164:167]// 000000003C94: D3F300A4 0E93BD0E
	v_mfma_f32_16x16x32_fp8_fp8 v[168:171], a[24:25], v[200:201], 0// 000000003C9C: D3F300A8 0A039118
	v_mfma_f32_16x16x32_fp8_fp8 v[168:171], a[26:27], v[202:203], v[168:171]// 000000003CA4: D3F300A8 0EA3951A
	buffer_load_dwordx4 a[88:91], v45, s[92:95], 0 offen offset:2048// 000000003CAC: E05C1800 8097582D
	v_mfma_f32_16x16x32_fp8_fp8 v[168:171], a[28:29], v[204:205], v[168:171]// 000000003CB4: D3F300A8 0EA3991C
	v_mfma_f32_16x16x32_fp8_fp8 v[168:171], a[30:31], v[206:207], v[168:171]// 000000003CBC: D3F300A8 0EA39D1E
	v_mfma_f32_16x16x32_fp8_fp8 v[172:175], a[24:25], v[216:217], 0// 000000003CC4: D3F300AC 0A03B118
	v_mfma_f32_16x16x32_fp8_fp8 v[172:175], a[26:27], v[218:219], v[172:175]// 000000003CCC: D3F300AC 0EB3B51A
	buffer_load_dwordx4 a[92:95], v45, s[92:95], 0 offen offset:3072// 000000003CD4: E05C1C00 80975C2D
	v_mfma_f32_16x16x32_fp8_fp8 v[172:175], a[28:29], v[220:221], v[172:175]// 000000003CDC: D3F300AC 0EB3B91C
	v_mfma_f32_16x16x32_fp8_fp8 v[172:175], a[30:31], v[222:223], v[172:175]// 000000003CE4: D3F300AC 0EB3BD1E
	s_waitcnt vmcnt(22)                                        // 000000003CEC: BF8C4F76
	v_mfma_f32_16x16x32_fp8_fp8 v[176:179], a[40:41], v[200:201], 0// 000000003CF0: D3F300B0 0A039128
	v_mfma_f32_16x16x32_fp8_fp8 v[176:179], a[42:43], v[202:203], v[176:179]// 000000003CF8: D3F300B0 0EC3952A
	buffer_load_dwordx4 a[104:107], v46, s[92:95], 0 offen offset:2048// 000000003D00: E05C1800 8097682E
	v_mfma_f32_16x16x32_fp8_fp8 v[176:179], a[44:45], v[204:205], v[176:179]// 000000003D08: D3F300B0 0EC3992C
	v_mfma_f32_16x16x32_fp8_fp8 v[176:179], a[46:47], v[206:207], v[176:179]// 000000003D10: D3F300B0 0EC39D2E
	v_mfma_f32_16x16x32_fp8_fp8 v[180:183], a[40:41], v[216:217], 0// 000000003D18: D3F300B4 0A03B128
	v_mfma_f32_16x16x32_fp8_fp8 v[180:183], a[42:43], v[218:219], v[180:183]// 000000003D20: D3F300B4 0ED3B52A
	buffer_load_dwordx4 a[108:111], v46, s[92:95], 0 offen offset:3072// 000000003D28: E05C1C00 80976C2E
	v_mfma_f32_16x16x32_fp8_fp8 v[180:183], a[44:45], v[220:221], v[180:183]// 000000003D30: D3F300B4 0ED3B92C
	v_mfma_f32_16x16x32_fp8_fp8 v[180:183], a[46:47], v[222:223], v[180:183]// 000000003D38: D3F300B4 0ED3BD2E
	v_mfma_f32_16x16x32_fp8_fp8 v[184:187], a[56:57], v[200:201], 0// 000000003D40: D3F300B8 0A039138
	v_mfma_f32_16x16x32_fp8_fp8 v[184:187], a[58:59], v[202:203], v[184:187]// 000000003D48: D3F300B8 0EE3953A
	buffer_load_dwordx4 a[120:123], v47, s[92:95], 0 offen offset:2048// 000000003D50: E05C1800 8097782F
	v_mfma_f32_16x16x32_fp8_fp8 v[184:187], a[60:61], v[204:205], v[184:187]// 000000003D58: D3F300B8 0EE3993C
	v_mfma_f32_16x16x32_fp8_fp8 v[184:187], a[62:63], v[206:207], v[184:187]// 000000003D60: D3F300B8 0EE39D3E
	v_mfma_f32_16x16x32_fp8_fp8 v[188:191], a[56:57], v[216:217], 0// 000000003D68: D3F300BC 0A03B138
	v_mfma_f32_16x16x32_fp8_fp8 v[188:191], a[58:59], v[218:219], v[188:191]// 000000003D70: D3F300BC 0EF3B53A
	buffer_load_dwordx4 a[124:127], v47, s[92:95], 0 offen offset:3072// 000000003D78: E05C1C00 80977C2F
	v_mfma_f32_16x16x32_fp8_fp8 v[188:191], a[60:61], v[220:221], v[188:191]// 000000003D80: D3F300BC 0EF3B93C
	v_mfma_f32_16x16x32_fp8_fp8 v[188:191], a[62:63], v[222:223], v[188:191]// 000000003D88: D3F300BC 0EF3BD3E
	v_mul_f32_dpp v56, v23, v17 row_newbcast:2 row_mask:0xf bank_mask:0xf// 000000003D90: 0A7022FA FF015217
	v_mov_b32_e32 v57, v56                                     // 000000003D98: 7E720338
	v_pk_fma_f32 v[128:129], v[160:161], v[56:57], v[128:129]  // 000000003D9C: D3B04080 1E0271A0
	v_pk_fma_f32 v[130:131], v[162:163], v[56:57], v[130:131]  // 000000003DA4: D3B04082 1E0A71A2
	v_pk_fma_f32 v[136:137], v[168:169], v[56:57], v[136:137]  // 000000003DAC: D3B04088 1E2271A8
	v_pk_fma_f32 v[138:139], v[170:171], v[56:57], v[138:139]  // 000000003DB4: D3B0408A 1E2A71AA
	v_mul_f32_dpp v56, v23, v17 row_newbcast:3 row_mask:0xf bank_mask:0xf// 000000003DBC: 0A7022FA FF015317
	v_mov_b32_e32 v57, v56                                     // 000000003DC4: 7E720338
	v_pk_fma_f32 v[144:145], v[176:177], v[56:57], v[144:145]  // 000000003DC8: D3B04090 1E4271B0
	v_pk_fma_f32 v[146:147], v[178:179], v[56:57], v[146:147]  // 000000003DD0: D3B04092 1E4A71B2
	v_pk_fma_f32 v[152:153], v[184:185], v[56:57], v[152:153]  // 000000003DD8: D3B04098 1E6271B8
	v_pk_fma_f32 v[154:155], v[186:187], v[56:57], v[154:155]  // 000000003DE0: D3B0409A 1E6A71BA
	v_mul_f32_dpp v56, v23, v18 row_newbcast:2 row_mask:0xf bank_mask:0xf// 000000003DE8: 0A7024FA FF015217
	v_mov_b32_e32 v57, v56                                     // 000000003DF0: 7E720338
	v_pk_fma_f32 v[132:133], v[164:165], v[56:57], v[132:133]  // 000000003DF4: D3B04084 1E1271A4
	v_pk_fma_f32 v[134:135], v[166:167], v[56:57], v[134:135]  // 000000003DFC: D3B04086 1E1A71A6
	v_pk_fma_f32 v[140:141], v[172:173], v[56:57], v[140:141]  // 000000003E04: D3B0408C 1E3271AC
	v_pk_fma_f32 v[142:143], v[174:175], v[56:57], v[142:143]  // 000000003E0C: D3B0408E 1E3A71AE
	v_mul_f32_dpp v56, v23, v18 row_newbcast:3 row_mask:0xf bank_mask:0xf// 000000003E14: 0A7024FA FF015317
	v_mov_b32_e32 v57, v56                                     // 000000003E1C: 7E720338
	v_pk_fma_f32 v[148:149], v[180:181], v[56:57], v[148:149]  // 000000003E20: D3B04094 1E5271B4
	v_pk_fma_f32 v[150:151], v[182:183], v[56:57], v[150:151]  // 000000003E28: D3B04096 1E5A71B6
	v_pk_fma_f32 v[156:157], v[188:189], v[56:57], v[156:157]  // 000000003E30: D3B0409C 1E7271BC
	v_pk_fma_f32 v[158:159], v[190:191], v[56:57], v[158:159]  // 000000003E38: D3B0409E 1E7A71BE
	s_add_u32 s60, 0x100, s80                                  // 000000003E40: 803C50FF 00000100
	s_cmp_lt_u32 s60, s81                                      // 000000003E48: BF0A513C
	s_cselect_b32 s4, s4, 0                                    // 000000003E4C: 85048004
	s_add_u32 s32, s4, s32                                     // 000000003E50: 80202004
	s_addc_u32 s33, 0, s33                                     // 000000003E54: 82212180
	s_waitcnt vmcnt(8)                                         // 000000003E58: BF8C0F78
	s_barrier                                                  // 000000003E5C: BF8A0000
	v_mfma_f32_16x16x32_fp8_fp8 v[96:99], a[64:65], v[192:193], 0// 000000003E60: D3F30060 0A038140
	v_mfma_f32_16x16x32_fp8_fp8 v[96:99], a[66:67], v[194:195], v[96:99]// 000000003E68: D3F30060 0D838542
	buffer_load_dwordx4 a[0:3], v44, s[24:27], 0 offen         // 000000003E70: E05C1000 8086002C
	v_mfma_f32_16x16x32_fp8_fp8 v[96:99], a[68:69], v[196:197], v[96:99]// 000000003E78: D3F30060 0D838944
	v_mfma_f32_16x16x32_fp8_fp8 v[96:99], a[70:71], v[198:199], v[96:99]// 000000003E80: D3F30060 0D838D46
	buffer_load_dword v23, v11, s[32:35], 0 offen              // 000000003E88: E0501000 8008170B
	v_mfma_f32_16x16x32_fp8_fp8 v[100:103], a[64:65], v[208:209], 0// 000000003E90: D3F30064 0A03A140
	v_mfma_f32_16x16x32_fp8_fp8 v[100:103], a[66:67], v[210:211], v[100:103]// 000000003E98: D3F30064 0D93A542
	buffer_load_dwordx4 a[4:7], v44, s[24:27], 0 offen offset:1024// 000000003EA0: E05C1400 8086042C
	v_mfma_f32_16x16x32_fp8_fp8 v[100:103], a[68:69], v[212:213], v[100:103]// 000000003EA8: D3F30064 0D93A944
	v_mfma_f32_16x16x32_fp8_fp8 v[100:103], a[70:71], v[214:215], v[100:103]// 000000003EB0: D3F30064 0D93AD46
	v_mfma_f32_16x16x32_fp8_fp8 v[104:107], a[80:81], v[192:193], 0// 000000003EB8: D3F30068 0A038150
	v_mfma_f32_16x16x32_fp8_fp8 v[104:107], a[82:83], v[194:195], v[104:107]// 000000003EC0: D3F30068 0DA38552
	buffer_load_dwordx4 a[16:19], v45, s[24:27], 0 offen       // 000000003EC8: E05C1000 8086102D
	v_mfma_f32_16x16x32_fp8_fp8 v[104:107], a[84:85], v[196:197], v[104:107]// 000000003ED0: D3F30068 0DA38954
	v_mfma_f32_16x16x32_fp8_fp8 v[104:107], a[86:87], v[198:199], v[104:107]// 000000003ED8: D3F30068 0DA38D56
	v_mfma_f32_16x16x32_fp8_fp8 v[108:111], a[80:81], v[208:209], 0// 000000003EE0: D3F3006C 0A03A150
	v_mfma_f32_16x16x32_fp8_fp8 v[108:111], a[82:83], v[210:211], v[108:111]// 000000003EE8: D3F3006C 0DB3A552
	buffer_load_dwordx4 a[20:23], v45, s[24:27], 0 offen offset:1024// 000000003EF0: E05C1400 8086142D
	v_mfma_f32_16x16x32_fp8_fp8 v[108:111], a[84:85], v[212:213], v[108:111]// 000000003EF8: D3F3006C 0DB3A954
	v_mfma_f32_16x16x32_fp8_fp8 v[108:111], a[86:87], v[214:215], v[108:111]// 000000003F00: D3F3006C 0DB3AD56
	v_mfma_f32_16x16x32_fp8_fp8 v[112:115], a[96:97], v[192:193], 0// 000000003F08: D3F30070 0A038160
	v_mfma_f32_16x16x32_fp8_fp8 v[112:115], a[98:99], v[194:195], v[112:115]// 000000003F10: D3F30070 0DC38562
	buffer_load_dwordx4 a[32:35], v46, s[24:27], 0 offen       // 000000003F18: E05C1000 8086202E
	v_mfma_f32_16x16x32_fp8_fp8 v[112:115], a[100:101], v[196:197], v[112:115]// 000000003F20: D3F30070 0DC38964
	v_mfma_f32_16x16x32_fp8_fp8 v[112:115], a[102:103], v[198:199], v[112:115]// 000000003F28: D3F30070 0DC38D66
	v_mfma_f32_16x16x32_fp8_fp8 v[116:119], a[96:97], v[208:209], 0// 000000003F30: D3F30074 0A03A160
	v_mfma_f32_16x16x32_fp8_fp8 v[116:119], a[98:99], v[210:211], v[116:119]// 000000003F38: D3F30074 0DD3A562
	buffer_load_dwordx4 a[36:39], v46, s[24:27], 0 offen offset:1024// 000000003F40: E05C1400 8086242E
	v_mfma_f32_16x16x32_fp8_fp8 v[116:119], a[100:101], v[212:213], v[116:119]// 000000003F48: D3F30074 0DD3A964
	v_mfma_f32_16x16x32_fp8_fp8 v[116:119], a[102:103], v[214:215], v[116:119]// 000000003F50: D3F30074 0DD3AD66
	v_mfma_f32_16x16x32_fp8_fp8 v[120:123], a[112:113], v[192:193], 0// 000000003F58: D3F30078 0A038170
	v_mfma_f32_16x16x32_fp8_fp8 v[120:123], a[114:115], v[194:195], v[120:123]// 000000003F60: D3F30078 0DE38572
	buffer_load_dwordx4 a[48:51], v47, s[24:27], 0 offen       // 000000003F68: E05C1000 8086302F
	v_mfma_f32_16x16x32_fp8_fp8 v[120:123], a[116:117], v[196:197], v[120:123]// 000000003F70: D3F30078 0DE38974
	v_mfma_f32_16x16x32_fp8_fp8 v[120:123], a[118:119], v[198:199], v[120:123]// 000000003F78: D3F30078 0DE38D76
	v_mfma_f32_16x16x32_fp8_fp8 v[124:127], a[112:113], v[208:209], 0// 000000003F80: D3F3007C 0A03A170
	v_mfma_f32_16x16x32_fp8_fp8 v[124:127], a[114:115], v[210:211], v[124:127]// 000000003F88: D3F3007C 0DF3A572
	buffer_load_dwordx4 a[52:55], v47, s[24:27], 0 offen offset:1024// 000000003F90: E05C1400 8086342F
	v_mfma_f32_16x16x32_fp8_fp8 v[124:127], a[116:117], v[212:213], v[124:127]// 000000003F98: D3F3007C 0DF3A974
	v_mfma_f32_16x16x32_fp8_fp8 v[124:127], a[118:119], v[214:215], v[124:127]// 000000003FA0: D3F3007C 0DF3AD76
	v_mul_f32_dpp v56, v24, v15 row_newbcast:0 row_mask:0xf bank_mask:0xf// 000000003FA8: 0A701EFA FF015018
	v_mov_b32_e32 v57, v56                                     // 000000003FB0: 7E720338
	v_pk_fma_f32 v[64:65], v[96:97], v[56:57], v[64:65]        // 000000003FB4: D3B04040 1D027160
	v_pk_fma_f32 v[66:67], v[98:99], v[56:57], v[66:67]        // 000000003FBC: D3B04042 1D0A7162
	v_pk_fma_f32 v[72:73], v[104:105], v[56:57], v[72:73]      // 000000003FC4: D3B04048 1D227168
	v_pk_fma_f32 v[74:75], v[106:107], v[56:57], v[74:75]      // 000000003FCC: D3B0404A 1D2A716A
	v_mul_f32_dpp v56, v24, v15 row_newbcast:1 row_mask:0xf bank_mask:0xf// 000000003FD4: 0A701EFA FF015118
	v_mov_b32_e32 v57, v56                                     // 000000003FDC: 7E720338
	v_pk_fma_f32 v[80:81], v[112:113], v[56:57], v[80:81]      // 000000003FE0: D3B04050 1D427170
	v_pk_fma_f32 v[82:83], v[114:115], v[56:57], v[82:83]      // 000000003FE8: D3B04052 1D4A7172
	v_pk_fma_f32 v[88:89], v[120:121], v[56:57], v[88:89]      // 000000003FF0: D3B04058 1D627178
	v_pk_fma_f32 v[90:91], v[122:123], v[56:57], v[90:91]      // 000000003FF8: D3B0405A 1D6A717A
	v_mul_f32_dpp v56, v24, v16 row_newbcast:0 row_mask:0xf bank_mask:0xf// 000000004000: 0A7020FA FF015018
	v_mov_b32_e32 v57, v56                                     // 000000004008: 7E720338
	v_pk_fma_f32 v[68:69], v[100:101], v[56:57], v[68:69]      // 00000000400C: D3B04044 1D127164
	v_pk_fma_f32 v[70:71], v[102:103], v[56:57], v[70:71]      // 000000004014: D3B04046 1D1A7166
	v_pk_fma_f32 v[76:77], v[108:109], v[56:57], v[76:77]      // 00000000401C: D3B0404C 1D32716C
	v_pk_fma_f32 v[78:79], v[110:111], v[56:57], v[78:79]      // 000000004024: D3B0404E 1D3A716E
	v_mul_f32_dpp v56, v24, v16 row_newbcast:1 row_mask:0xf bank_mask:0xf// 00000000402C: 0A7020FA FF015118
	v_mov_b32_e32 v57, v56                                     // 000000004034: 7E720338
	v_pk_fma_f32 v[84:85], v[116:117], v[56:57], v[84:85]      // 000000004038: D3B04054 1D527174
	v_pk_fma_f32 v[86:87], v[118:119], v[56:57], v[86:87]      // 000000004040: D3B04056 1D5A7176
	v_pk_fma_f32 v[92:93], v[124:125], v[56:57], v[92:93]      // 000000004048: D3B0405C 1D72717C
	v_pk_fma_f32 v[94:95], v[126:127], v[56:57], v[94:95]      // 000000004050: D3B0405E 1D7A717E
	s_waitcnt vmcnt(13)                                        // 000000004058: BF8C0F7D
	v_mfma_f32_16x16x32_fp8_fp8 v[96:99], a[72:73], v[200:201], 0// 00000000405C: D3F30060 0A039148
	v_mfma_f32_16x16x32_fp8_fp8 v[96:99], a[74:75], v[202:203], v[96:99]// 000000004064: D3F30060 0D83954A
	buffer_load_dwordx4 a[8:11], v44, s[24:27], 0 offen offset:2048// 00000000406C: E05C1800 8086082C
	v_mfma_f32_16x16x32_fp8_fp8 v[96:99], a[76:77], v[204:205], v[96:99]// 000000004074: D3F30060 0D83994C
	v_mfma_f32_16x16x32_fp8_fp8 v[96:99], a[78:79], v[206:207], v[96:99]// 00000000407C: D3F30060 0D839D4E
	ds_read_b128 v[224:227], v2 offset:9344                    // 000000004084: D9FE2480 E0000002
	ds_read_b32 v19, v3 offset:17664                           // 00000000408C: D86C4500 13000003
	v_mfma_f32_16x16x32_fp8_fp8 v[100:103], a[72:73], v[216:217], 0// 000000004094: D3F30064 0A03B148
	v_mfma_f32_16x16x32_fp8_fp8 v[100:103], a[74:75], v[218:219], v[100:103]// 00000000409C: D3F30064 0D93B54A
	buffer_load_dwordx4 a[12:15], v44, s[24:27], 0 offen offset:3072// 0000000040A4: E05C1C00 80860C2C
	v_mfma_f32_16x16x32_fp8_fp8 v[100:103], a[76:77], v[220:221], v[100:103]// 0000000040AC: D3F30064 0D93B94C
	v_mfma_f32_16x16x32_fp8_fp8 v[100:103], a[78:79], v[222:223], v[100:103]// 0000000040B4: D3F30064 0D93BD4E
	ds_read_b128 v[228:231], v2 offset:9408                    // 0000000040BC: D9FE24C0 E4000002
	ds_read_b32 v20, v3 offset:17920                           // 0000000040C4: D86C4600 14000003
	v_mfma_f32_16x16x32_fp8_fp8 v[104:107], a[88:89], v[200:201], 0// 0000000040CC: D3F30068 0A039158
	v_mfma_f32_16x16x32_fp8_fp8 v[104:107], a[90:91], v[202:203], v[104:107]// 0000000040D4: D3F30068 0DA3955A
	buffer_load_dwordx4 a[24:27], v45, s[24:27], 0 offen offset:2048// 0000000040DC: E05C1800 8086182D
	v_mfma_f32_16x16x32_fp8_fp8 v[104:107], a[92:93], v[204:205], v[104:107]// 0000000040E4: D3F30068 0DA3995C
	v_mfma_f32_16x16x32_fp8_fp8 v[104:107], a[94:95], v[206:207], v[104:107]// 0000000040EC: D3F30068 0DA39D5E
	ds_read_b128 v[232:235], v2 offset:9472                    // 0000000040F4: D9FE2500 E8000002
	ds_read_b32 v21, v3 offset:18176                           // 0000000040FC: D86C4700 15000003
	v_mfma_f32_16x16x32_fp8_fp8 v[108:111], a[88:89], v[216:217], 0// 000000004104: D3F3006C 0A03B158
	v_mfma_f32_16x16x32_fp8_fp8 v[108:111], a[90:91], v[218:219], v[108:111]// 00000000410C: D3F3006C 0DB3B55A
	buffer_load_dwordx4 a[28:31], v45, s[24:27], 0 offen offset:3072// 000000004114: E05C1C00 80861C2D
	v_mfma_f32_16x16x32_fp8_fp8 v[108:111], a[92:93], v[220:221], v[108:111]// 00000000411C: D3F3006C 0DB3B95C
	v_mfma_f32_16x16x32_fp8_fp8 v[108:111], a[94:95], v[222:223], v[108:111]// 000000004124: D3F3006C 0DB3BD5E
	ds_read_b128 v[236:239], v2 offset:9536                    // 00000000412C: D9FE2540 EC000002
	ds_read_b32 v22, v3 offset:18432                           // 000000004134: D86C4800 16000003
	s_waitcnt vmcnt(13)                                        // 00000000413C: BF8C0F7D
	v_mfma_f32_16x16x32_fp8_fp8 v[112:115], a[104:105], v[200:201], 0// 000000004140: D3F30070 0A039168
	v_mfma_f32_16x16x32_fp8_fp8 v[112:115], a[106:107], v[202:203], v[112:115]// 000000004148: D3F30070 0DC3956A
	buffer_load_dwordx4 a[40:43], v46, s[24:27], 0 offen offset:2048// 000000004150: E05C1800 8086282E
	v_mfma_f32_16x16x32_fp8_fp8 v[112:115], a[108:109], v[204:205], v[112:115]// 000000004158: D3F30070 0DC3996C
	v_mfma_f32_16x16x32_fp8_fp8 v[112:115], a[110:111], v[206:207], v[112:115]// 000000004160: D3F30070 0DC39D6E
	ds_read_b128 v[240:243], v2 offset:10368                   // 000000004168: D9FE2880 F0000002
	v_mfma_f32_16x16x32_fp8_fp8 v[116:119], a[104:105], v[216:217], 0// 000000004170: D3F30074 0A03B168
	v_mfma_f32_16x16x32_fp8_fp8 v[116:119], a[106:107], v[218:219], v[116:119]// 000000004178: D3F30074 0DD3B56A
	buffer_load_dwordx4 a[44:47], v46, s[24:27], 0 offen offset:3072// 000000004180: E05C1C00 80862C2E
	v_mfma_f32_16x16x32_fp8_fp8 v[116:119], a[108:109], v[220:221], v[116:119]// 000000004188: D3F30074 0DD3B96C
	v_mfma_f32_16x16x32_fp8_fp8 v[116:119], a[110:111], v[222:223], v[116:119]// 000000004190: D3F30074 0DD3BD6E
	ds_read_b128 v[244:247], v2 offset:10432                   // 000000004198: D9FE28C0 F4000002
	v_mfma_f32_16x16x32_fp8_fp8 v[120:123], a[120:121], v[200:201], 0// 0000000041A0: D3F30078 0A039178
	v_mfma_f32_16x16x32_fp8_fp8 v[120:123], a[122:123], v[202:203], v[120:123]// 0000000041A8: D3F30078 0DE3957A
	buffer_load_dwordx4 a[56:59], v47, s[24:27], 0 offen offset:2048// 0000000041B0: E05C1800 8086382F
	v_mfma_f32_16x16x32_fp8_fp8 v[120:123], a[124:125], v[204:205], v[120:123]// 0000000041B8: D3F30078 0DE3997C
	v_mfma_f32_16x16x32_fp8_fp8 v[120:123], a[126:127], v[206:207], v[120:123]// 0000000041C0: D3F30078 0DE39D7E
	ds_read_b128 v[248:251], v2 offset:10496                   // 0000000041C8: D9FE2900 F8000002
	v_mfma_f32_16x16x32_fp8_fp8 v[124:127], a[120:121], v[216:217], 0// 0000000041D0: D3F3007C 0A03B178
	v_mfma_f32_16x16x32_fp8_fp8 v[124:127], a[122:123], v[218:219], v[124:127]// 0000000041D8: D3F3007C 0DF3B57A
	buffer_load_dwordx4 a[60:63], v47, s[24:27], 0 offen offset:3072// 0000000041E0: E05C1C00 80863C2F
	v_mfma_f32_16x16x32_fp8_fp8 v[124:127], a[124:125], v[220:221], v[124:127]// 0000000041E8: D3F3007C 0DF3B97C
	v_mfma_f32_16x16x32_fp8_fp8 v[124:127], a[126:127], v[222:223], v[124:127]// 0000000041F0: D3F3007C 0DF3BD7E
	ds_read_b128 v[252:255], v2 offset:10560                   // 0000000041F8: D9FE2940 FC000002
	v_mul_f32_dpp v56, v24, v17 row_newbcast:2 row_mask:0xf bank_mask:0xf// 000000004200: 0A7022FA FF015218
	v_mov_b32_e32 v57, v56                                     // 000000004208: 7E720338
	v_pk_fma_f32 v[64:65], v[96:97], v[56:57], v[64:65]        // 00000000420C: D3B04040 1D027160
	v_pk_fma_f32 v[66:67], v[98:99], v[56:57], v[66:67]        // 000000004214: D3B04042 1D0A7162
	v_pk_fma_f32 v[72:73], v[104:105], v[56:57], v[72:73]      // 00000000421C: D3B04048 1D227168
	v_pk_fma_f32 v[74:75], v[106:107], v[56:57], v[74:75]      // 000000004224: D3B0404A 1D2A716A
	v_mul_f32_dpp v56, v24, v17 row_newbcast:3 row_mask:0xf bank_mask:0xf// 00000000422C: 0A7022FA FF015318
	v_mov_b32_e32 v57, v56                                     // 000000004234: 7E720338
	v_pk_fma_f32 v[80:81], v[112:113], v[56:57], v[80:81]      // 000000004238: D3B04050 1D427170
	v_pk_fma_f32 v[82:83], v[114:115], v[56:57], v[82:83]      // 000000004240: D3B04052 1D4A7172
	v_pk_fma_f32 v[88:89], v[120:121], v[56:57], v[88:89]      // 000000004248: D3B04058 1D627178
	v_pk_fma_f32 v[90:91], v[122:123], v[56:57], v[90:91]      // 000000004250: D3B0405A 1D6A717A
	v_mul_f32_dpp v56, v24, v18 row_newbcast:2 row_mask:0xf bank_mask:0xf// 000000004258: 0A7024FA FF015218
	v_mov_b32_e32 v57, v56                                     // 000000004260: 7E720338
	v_pk_fma_f32 v[68:69], v[100:101], v[56:57], v[68:69]      // 000000004264: D3B04044 1D127164
	v_pk_fma_f32 v[70:71], v[102:103], v[56:57], v[70:71]      // 00000000426C: D3B04046 1D1A7166
	v_pk_fma_f32 v[76:77], v[108:109], v[56:57], v[76:77]      // 000000004274: D3B0404C 1D32716C
	v_pk_fma_f32 v[78:79], v[110:111], v[56:57], v[78:79]      // 00000000427C: D3B0404E 1D3A716E
	v_mul_f32_dpp v56, v24, v18 row_newbcast:3 row_mask:0xf bank_mask:0xf// 000000004284: 0A7024FA FF015318
	v_mov_b32_e32 v57, v56                                     // 00000000428C: 7E720338
	v_pk_fma_f32 v[84:85], v[116:117], v[56:57], v[84:85]      // 000000004290: D3B04054 1D527174
	v_pk_fma_f32 v[86:87], v[118:119], v[56:57], v[86:87]      // 000000004298: D3B04056 1D5A7176
	v_pk_fma_f32 v[92:93], v[124:125], v[56:57], v[92:93]      // 0000000042A0: D3B0405C 1D72717C
	v_pk_fma_f32 v[94:95], v[126:127], v[56:57], v[94:95]      // 0000000042A8: D3B0405E 1D7A717E
	s_add_u32 s60, 0x200, s80                                  // 0000000042B0: 803C50FF 00000200
	s_cmp_lt_u32 s60, s81                                      // 0000000042B8: BF0A513C
	s_cselect_b32 s57, s57, 0                                  // 0000000042BC: 85398039
	s_cselect_b32 s3, s3, 0                                    // 0000000042C0: 85038003
	s_add_u32 s60, 0x200, s80                                  // 0000000042C4: 803C50FF 00000200
	s_cmp_lt_u32 s60, s81                                      // 0000000042CC: BF0A513C
	s_cselect_b32 s58, s58, 0                                  // 0000000042D0: 853A803A
	s_add_u32 s20, s57, s20                                    // 0000000042D4: 80141439
	s_addc_u32 s21, 0, s21                                     // 0000000042D8: 82151580
	s_add_u32 s28, s3, s28                                     // 0000000042DC: 801C1C03
	s_addc_u32 s29, 0, s29                                     // 0000000042E0: 821D1D80
	s_add_u32 s24, s58, s24                                    // 0000000042E4: 8018183A
	s_addc_u32 s25, 0, s25                                     // 0000000042E8: 82191980
	s_add_u32 s92, s90, s92                                    // 0000000042EC: 805C5C5A
	s_addc_u32 s93, 0, s93                                     // 0000000042F0: 825D5D80
	s_addk_i32 s80, 0x100                                      // 0000000042F4: B7500100
	s_cmp_lt_i32 s80, s81                                      // 0000000042F8: BF045150
	s_cbranch_scc0 label_0791                                  // 0000000042FC: BF840251
	s_waitcnt vmcnt(8) lgkmcnt(0)                              // 000000004300: BF8C0078
	s_barrier                                                  // 000000004304: BF8A0000
	v_mfma_f32_16x16x32_fp8_fp8 v[160:163], a[0:1], v[224:225], 0// 000000004308: D3F300A0 0A03C100
	v_mfma_f32_16x16x32_fp8_fp8 v[160:163], a[2:3], v[226:227], v[160:163]// 000000004310: D3F300A0 0E83C502
	buffer_load_dwordx4 a[64:67], v44, s[92:95], 0 offen       // 000000004318: E05C1000 8097402C
	v_mfma_f32_16x16x32_fp8_fp8 v[160:163], a[4:5], v[228:229], v[160:163]// 000000004320: D3F300A0 0E83C904
	v_mfma_f32_16x16x32_fp8_fp8 v[160:163], a[6:7], v[230:231], v[160:163]// 000000004328: D3F300A0 0E83CD06
	buffer_load_dword v36, s[20:23], 0 offen lds               // 000000004330: E0511000 80050024
	s_add_u32 m0, 0x100, s50                                   // 000000004338: 807C32FF 00000100
	v_mfma_f32_16x16x32_fp8_fp8 v[164:167], a[0:1], v[240:241], 0// 000000004340: D3F300A4 0A03E100
	v_mfma_f32_16x16x32_fp8_fp8 v[164:167], a[2:3], v[242:243], v[164:167]// 000000004348: D3F300A4 0E93E502
	buffer_load_dwordx4 a[68:71], v44, s[92:95], 0 offen offset:1024// 000000004350: E05C1400 8097442C
	v_mfma_f32_16x16x32_fp8_fp8 v[164:167], a[4:5], v[244:245], v[164:167]// 000000004358: D3F300A4 0E93E904
	v_mfma_f32_16x16x32_fp8_fp8 v[164:167], a[6:7], v[246:247], v[164:167]// 000000004360: D3F300A4 0E93ED06
	buffer_load_dword v37, s[20:23], 0 offen lds               // 000000004368: E0511000 80050025
	s_add_u32 m0, 0x200, s50                                   // 000000004370: 807C32FF 00000200
	v_mfma_f32_16x16x32_fp8_fp8 v[168:171], a[16:17], v[224:225], 0// 000000004378: D3F300A8 0A03C110
	v_mfma_f32_16x16x32_fp8_fp8 v[168:171], a[18:19], v[226:227], v[168:171]// 000000004380: D3F300A8 0EA3C512
	buffer_load_dwordx4 a[80:83], v45, s[92:95], 0 offen       // 000000004388: E05C1000 8097502D
	v_mfma_f32_16x16x32_fp8_fp8 v[168:171], a[20:21], v[228:229], v[168:171]// 000000004390: D3F300A8 0EA3C914
	v_mfma_f32_16x16x32_fp8_fp8 v[168:171], a[22:23], v[230:231], v[168:171]// 000000004398: D3F300A8 0EA3CD16
	buffer_load_dword v38, s[20:23], 0 offen lds               // 0000000043A0: E0511000 80050026
	s_add_u32 m0, 0x300, s50                                   // 0000000043A8: 807C32FF 00000300
	v_mfma_f32_16x16x32_fp8_fp8 v[172:175], a[16:17], v[240:241], 0// 0000000043B0: D3F300AC 0A03E110
	v_mfma_f32_16x16x32_fp8_fp8 v[172:175], a[18:19], v[242:243], v[172:175]// 0000000043B8: D3F300AC 0EB3E512
	buffer_load_dwordx4 a[84:87], v45, s[92:95], 0 offen offset:1024// 0000000043C0: E05C1400 8097542D
	v_mfma_f32_16x16x32_fp8_fp8 v[172:175], a[20:21], v[244:245], v[172:175]// 0000000043C8: D3F300AC 0EB3E914
	v_mfma_f32_16x16x32_fp8_fp8 v[172:175], a[22:23], v[246:247], v[172:175]// 0000000043D0: D3F300AC 0EB3ED16
	buffer_load_dword v39, s[20:23], 0 offen lds               // 0000000043D8: E0511000 80050027
	s_add_u32 m0, 0x400, s50                                   // 0000000043E0: 807C32FF 00000400
	v_mfma_f32_16x16x32_fp8_fp8 v[176:179], a[32:33], v[224:225], 0// 0000000043E8: D3F300B0 0A03C120
	v_mfma_f32_16x16x32_fp8_fp8 v[176:179], a[34:35], v[226:227], v[176:179]// 0000000043F0: D3F300B0 0EC3C522
	buffer_load_dwordx4 a[96:99], v46, s[92:95], 0 offen       // 0000000043F8: E05C1000 8097602E
	v_mfma_f32_16x16x32_fp8_fp8 v[176:179], a[36:37], v[228:229], v[176:179]// 000000004400: D3F300B0 0EC3C924
	v_mfma_f32_16x16x32_fp8_fp8 v[176:179], a[38:39], v[230:231], v[176:179]// 000000004408: D3F300B0 0EC3CD26
	buffer_load_dword v40, s[20:23], 0 offen lds               // 000000004410: E0511000 80050028
	s_add_u32 m0, 0x500, s50                                   // 000000004418: 807C32FF 00000500
	v_mfma_f32_16x16x32_fp8_fp8 v[180:183], a[32:33], v[240:241], 0// 000000004420: D3F300B4 0A03E120
	v_mfma_f32_16x16x32_fp8_fp8 v[180:183], a[34:35], v[242:243], v[180:183]// 000000004428: D3F300B4 0ED3E522
	buffer_load_dwordx4 a[100:103], v46, s[92:95], 0 offen offset:1024// 000000004430: E05C1400 8097642E
	v_mfma_f32_16x16x32_fp8_fp8 v[180:183], a[36:37], v[244:245], v[180:183]// 000000004438: D3F300B4 0ED3E924
	v_mfma_f32_16x16x32_fp8_fp8 v[180:183], a[38:39], v[246:247], v[180:183]// 000000004440: D3F300B4 0ED3ED26
	buffer_load_dword v41, s[20:23], 0 offen lds               // 000000004448: E0511000 80050029
	s_add_u32 m0, 0x600, s50                                   // 000000004450: 807C32FF 00000600
	v_mfma_f32_16x16x32_fp8_fp8 v[184:187], a[48:49], v[224:225], 0// 000000004458: D3F300B8 0A03C130
	v_mfma_f32_16x16x32_fp8_fp8 v[184:187], a[50:51], v[226:227], v[184:187]// 000000004460: D3F300B8 0EE3C532
	buffer_load_dwordx4 a[112:115], v47, s[92:95], 0 offen     // 000000004468: E05C1000 8097702F
	v_mfma_f32_16x16x32_fp8_fp8 v[184:187], a[52:53], v[228:229], v[184:187]// 000000004470: D3F300B8 0EE3C934
	v_mfma_f32_16x16x32_fp8_fp8 v[184:187], a[54:55], v[230:231], v[184:187]// 000000004478: D3F300B8 0EE3CD36
	buffer_load_dword v42, s[20:23], 0 offen lds               // 000000004480: E0511000 8005002A
	s_add_u32 m0, 0x700, s50                                   // 000000004488: 807C32FF 00000700
	v_mfma_f32_16x16x32_fp8_fp8 v[188:191], a[48:49], v[240:241], 0// 000000004490: D3F300BC 0A03E130
	v_mfma_f32_16x16x32_fp8_fp8 v[188:191], a[50:51], v[242:243], v[188:191]// 000000004498: D3F300BC 0EF3E532
	buffer_load_dwordx4 a[116:119], v47, s[92:95], 0 offen offset:1024// 0000000044A0: E05C1400 8097742F
	v_mfma_f32_16x16x32_fp8_fp8 v[188:191], a[52:53], v[244:245], v[188:191]// 0000000044A8: D3F300BC 0EF3E934
	v_mfma_f32_16x16x32_fp8_fp8 v[188:191], a[54:55], v[246:247], v[188:191]// 0000000044B0: D3F300BC 0EF3ED36
	buffer_load_dword v43, s[20:23], 0 offen lds               // 0000000044B8: E0511000 8005002B
	s_add_u32 m0, s50, s76                                     // 0000000044C0: 807C4C32
	buffer_load_dword v7, s[28:31], 0 offen lds                // 0000000044C4: E0511000 80070007
	s_add_u32 m0, 0, s51                                       // 0000000044CC: 807C3380
	buffer_load_dword v24, v13, s[32:35], 0 offen              // 0000000044D0: E0501000 8008180D
	v_mul_f32_dpp v56, v23, v19 row_newbcast:0 row_mask:0xf bank_mask:0xf// 0000000044D8: 0A7026FA FF015017
	v_mov_b32_e32 v57, v56                                     // 0000000044E0: 7E720338
	v_pk_fma_f32 v[128:129], v[160:161], v[56:57], v[128:129]  // 0000000044E4: D3B04080 1E0271A0
	v_pk_fma_f32 v[130:131], v[162:163], v[56:57], v[130:131]  // 0000000044EC: D3B04082 1E0A71A2
	v_pk_fma_f32 v[136:137], v[168:169], v[56:57], v[136:137]  // 0000000044F4: D3B04088 1E2271A8
	v_pk_fma_f32 v[138:139], v[170:171], v[56:57], v[138:139]  // 0000000044FC: D3B0408A 1E2A71AA
	v_mul_f32_dpp v56, v23, v19 row_newbcast:1 row_mask:0xf bank_mask:0xf// 000000004504: 0A7026FA FF015117
	v_mov_b32_e32 v57, v56                                     // 00000000450C: 7E720338
	v_pk_fma_f32 v[144:145], v[176:177], v[56:57], v[144:145]  // 000000004510: D3B04090 1E4271B0
	v_pk_fma_f32 v[146:147], v[178:179], v[56:57], v[146:147]  // 000000004518: D3B04092 1E4A71B2
	v_pk_fma_f32 v[152:153], v[184:185], v[56:57], v[152:153]  // 000000004520: D3B04098 1E6271B8
	v_pk_fma_f32 v[154:155], v[186:187], v[56:57], v[154:155]  // 000000004528: D3B0409A 1E6A71BA
	v_mul_f32_dpp v56, v23, v20 row_newbcast:0 row_mask:0xf bank_mask:0xf// 000000004530: 0A7028FA FF015017
	v_mov_b32_e32 v57, v56                                     // 000000004538: 7E720338
	v_pk_fma_f32 v[132:133], v[164:165], v[56:57], v[132:133]  // 00000000453C: D3B04084 1E1271A4
	v_pk_fma_f32 v[134:135], v[166:167], v[56:57], v[134:135]  // 000000004544: D3B04086 1E1A71A6
	v_pk_fma_f32 v[140:141], v[172:173], v[56:57], v[140:141]  // 00000000454C: D3B0408C 1E3271AC
	v_pk_fma_f32 v[142:143], v[174:175], v[56:57], v[142:143]  // 000000004554: D3B0408E 1E3A71AE
	v_mul_f32_dpp v56, v23, v20 row_newbcast:1 row_mask:0xf bank_mask:0xf// 00000000455C: 0A7028FA FF015117
	v_mov_b32_e32 v57, v56                                     // 000000004564: 7E720338
	v_pk_fma_f32 v[148:149], v[180:181], v[56:57], v[148:149]  // 000000004568: D3B04094 1E5271B4
	v_pk_fma_f32 v[150:151], v[182:183], v[56:57], v[150:151]  // 000000004570: D3B04096 1E5A71B6
	v_pk_fma_f32 v[156:157], v[188:189], v[56:57], v[156:157]  // 000000004578: D3B0409C 1E7271BC
	v_pk_fma_f32 v[158:159], v[190:191], v[56:57], v[158:159]  // 000000004580: D3B0409E 1E7A71BE
	s_waitcnt vmcnt(22)                                        // 000000004588: BF8C4F76
	v_mfma_f32_16x16x32_fp8_fp8 v[160:163], a[8:9], v[232:233], 0// 00000000458C: D3F300A0 0A03D108
	v_mfma_f32_16x16x32_fp8_fp8 v[160:163], a[10:11], v[234:235], v[160:163]// 000000004594: D3F300A0 0E83D50A
	buffer_load_dwordx4 a[72:75], v44, s[92:95], 0 offen offset:2048// 00000000459C: E05C1800 8097482C
	v_mfma_f32_16x16x32_fp8_fp8 v[160:163], a[12:13], v[236:237], v[160:163]// 0000000045A4: D3F300A0 0E83D90C
	v_mfma_f32_16x16x32_fp8_fp8 v[160:163], a[14:15], v[238:239], v[160:163]// 0000000045AC: D3F300A0 0E83DD0E
	v_mfma_f32_16x16x32_fp8_fp8 v[164:167], a[8:9], v[248:249], 0// 0000000045B4: D3F300A4 0A03F108
	v_mfma_f32_16x16x32_fp8_fp8 v[164:167], a[10:11], v[250:251], v[164:167]// 0000000045BC: D3F300A4 0E93F50A
	buffer_load_dwordx4 a[76:79], v44, s[92:95], 0 offen offset:3072// 0000000045C4: E05C1C00 80974C2C
	v_mfma_f32_16x16x32_fp8_fp8 v[164:167], a[12:13], v[252:253], v[164:167]// 0000000045CC: D3F300A4 0E93F90C
	v_mfma_f32_16x16x32_fp8_fp8 v[164:167], a[14:15], v[254:255], v[164:167]// 0000000045D4: D3F300A4 0E93FD0E
	v_mfma_f32_16x16x32_fp8_fp8 v[168:171], a[24:25], v[232:233], 0// 0000000045DC: D3F300A8 0A03D118
	v_mfma_f32_16x16x32_fp8_fp8 v[168:171], a[26:27], v[234:235], v[168:171]// 0000000045E4: D3F300A8 0EA3D51A
	buffer_load_dwordx4 a[88:91], v45, s[92:95], 0 offen offset:2048// 0000000045EC: E05C1800 8097582D
	v_mfma_f32_16x16x32_fp8_fp8 v[168:171], a[28:29], v[236:237], v[168:171]// 0000000045F4: D3F300A8 0EA3D91C
	v_mfma_f32_16x16x32_fp8_fp8 v[168:171], a[30:31], v[238:239], v[168:171]// 0000000045FC: D3F300A8 0EA3DD1E
	v_mfma_f32_16x16x32_fp8_fp8 v[172:175], a[24:25], v[248:249], 0// 000000004604: D3F300AC 0A03F118
	v_mfma_f32_16x16x32_fp8_fp8 v[172:175], a[26:27], v[250:251], v[172:175]// 00000000460C: D3F300AC 0EB3F51A
	buffer_load_dwordx4 a[92:95], v45, s[92:95], 0 offen offset:3072// 000000004614: E05C1C00 80975C2D
	v_mfma_f32_16x16x32_fp8_fp8 v[172:175], a[28:29], v[252:253], v[172:175]// 00000000461C: D3F300AC 0EB3F91C
	v_mfma_f32_16x16x32_fp8_fp8 v[172:175], a[30:31], v[254:255], v[172:175]// 000000004624: D3F300AC 0EB3FD1E
	s_waitcnt vmcnt(22)                                        // 00000000462C: BF8C4F76
	v_mfma_f32_16x16x32_fp8_fp8 v[176:179], a[40:41], v[232:233], 0// 000000004630: D3F300B0 0A03D128
	v_mfma_f32_16x16x32_fp8_fp8 v[176:179], a[42:43], v[234:235], v[176:179]// 000000004638: D3F300B0 0EC3D52A
	buffer_load_dwordx4 a[104:107], v46, s[92:95], 0 offen offset:2048// 000000004640: E05C1800 8097682E
	v_mfma_f32_16x16x32_fp8_fp8 v[176:179], a[44:45], v[236:237], v[176:179]// 000000004648: D3F300B0 0EC3D92C
	v_mfma_f32_16x16x32_fp8_fp8 v[176:179], a[46:47], v[238:239], v[176:179]// 000000004650: D3F300B0 0EC3DD2E
	v_mfma_f32_16x16x32_fp8_fp8 v[180:183], a[40:41], v[248:249], 0// 000000004658: D3F300B4 0A03F128
	v_mfma_f32_16x16x32_fp8_fp8 v[180:183], a[42:43], v[250:251], v[180:183]// 000000004660: D3F300B4 0ED3F52A
	buffer_load_dwordx4 a[108:111], v46, s[92:95], 0 offen offset:3072// 000000004668: E05C1C00 80976C2E
	v_mfma_f32_16x16x32_fp8_fp8 v[180:183], a[44:45], v[252:253], v[180:183]// 000000004670: D3F300B4 0ED3F92C
	v_mfma_f32_16x16x32_fp8_fp8 v[180:183], a[46:47], v[254:255], v[180:183]// 000000004678: D3F300B4 0ED3FD2E
	v_mfma_f32_16x16x32_fp8_fp8 v[184:187], a[56:57], v[232:233], 0// 000000004680: D3F300B8 0A03D138
	v_mfma_f32_16x16x32_fp8_fp8 v[184:187], a[58:59], v[234:235], v[184:187]// 000000004688: D3F300B8 0EE3D53A
	buffer_load_dwordx4 a[120:123], v47, s[92:95], 0 offen offset:2048// 000000004690: E05C1800 8097782F
	v_mfma_f32_16x16x32_fp8_fp8 v[184:187], a[60:61], v[236:237], v[184:187]// 000000004698: D3F300B8 0EE3D93C
	v_mfma_f32_16x16x32_fp8_fp8 v[184:187], a[62:63], v[238:239], v[184:187]// 0000000046A0: D3F300B8 0EE3DD3E
	v_mfma_f32_16x16x32_fp8_fp8 v[188:191], a[56:57], v[248:249], 0// 0000000046A8: D3F300BC 0A03F138
	v_mfma_f32_16x16x32_fp8_fp8 v[188:191], a[58:59], v[250:251], v[188:191]// 0000000046B0: D3F300BC 0EF3F53A
	buffer_load_dwordx4 a[124:127], v47, s[92:95], 0 offen offset:3072// 0000000046B8: E05C1C00 80977C2F
	v_mfma_f32_16x16x32_fp8_fp8 v[188:191], a[60:61], v[252:253], v[188:191]// 0000000046C0: D3F300BC 0EF3F93C
	v_mfma_f32_16x16x32_fp8_fp8 v[188:191], a[62:63], v[254:255], v[188:191]// 0000000046C8: D3F300BC 0EF3FD3E
	v_mul_f32_dpp v56, v23, v21 row_newbcast:2 row_mask:0xf bank_mask:0xf// 0000000046D0: 0A702AFA FF015217
	v_mov_b32_e32 v57, v56                                     // 0000000046D8: 7E720338
	v_pk_fma_f32 v[128:129], v[160:161], v[56:57], v[128:129]  // 0000000046DC: D3B04080 1E0271A0
	v_pk_fma_f32 v[130:131], v[162:163], v[56:57], v[130:131]  // 0000000046E4: D3B04082 1E0A71A2
	v_pk_fma_f32 v[136:137], v[168:169], v[56:57], v[136:137]  // 0000000046EC: D3B04088 1E2271A8
	v_pk_fma_f32 v[138:139], v[170:171], v[56:57], v[138:139]  // 0000000046F4: D3B0408A 1E2A71AA
	v_mul_f32_dpp v56, v23, v21 row_newbcast:3 row_mask:0xf bank_mask:0xf// 0000000046FC: 0A702AFA FF015317
	v_mov_b32_e32 v57, v56                                     // 000000004704: 7E720338
	v_pk_fma_f32 v[144:145], v[176:177], v[56:57], v[144:145]  // 000000004708: D3B04090 1E4271B0
	v_pk_fma_f32 v[146:147], v[178:179], v[56:57], v[146:147]  // 000000004710: D3B04092 1E4A71B2
	v_pk_fma_f32 v[152:153], v[184:185], v[56:57], v[152:153]  // 000000004718: D3B04098 1E6271B8
	v_pk_fma_f32 v[154:155], v[186:187], v[56:57], v[154:155]  // 000000004720: D3B0409A 1E6A71BA
	v_mul_f32_dpp v56, v23, v22 row_newbcast:2 row_mask:0xf bank_mask:0xf// 000000004728: 0A702CFA FF015217
	v_mov_b32_e32 v57, v56                                     // 000000004730: 7E720338
	v_pk_fma_f32 v[132:133], v[164:165], v[56:57], v[132:133]  // 000000004734: D3B04084 1E1271A4
	v_pk_fma_f32 v[134:135], v[166:167], v[56:57], v[134:135]  // 00000000473C: D3B04086 1E1A71A6
	v_pk_fma_f32 v[140:141], v[172:173], v[56:57], v[140:141]  // 000000004744: D3B0408C 1E3271AC
	v_pk_fma_f32 v[142:143], v[174:175], v[56:57], v[142:143]  // 00000000474C: D3B0408E 1E3A71AE
	v_mul_f32_dpp v56, v23, v22 row_newbcast:3 row_mask:0xf bank_mask:0xf// 000000004754: 0A702CFA FF015317
	v_mov_b32_e32 v57, v56                                     // 00000000475C: 7E720338
	v_pk_fma_f32 v[148:149], v[180:181], v[56:57], v[148:149]  // 000000004760: D3B04094 1E5271B4
	v_pk_fma_f32 v[150:151], v[182:183], v[56:57], v[150:151]  // 000000004768: D3B04096 1E5A71B6
	v_pk_fma_f32 v[156:157], v[188:189], v[56:57], v[156:157]  // 000000004770: D3B0409C 1E7271BC
	v_pk_fma_f32 v[158:159], v[190:191], v[56:57], v[158:159]  // 000000004778: D3B0409E 1E7A71BE
	s_add_u32 s60, 0x100, s80                                  // 000000004780: 803C50FF 00000100
	s_cmp_lt_u32 s60, s81                                      // 000000004788: BF0A513C
	s_cselect_b32 s4, s4, 0                                    // 00000000478C: 85048004
	s_add_u32 s32, s4, s32                                     // 000000004790: 80202004
	s_addc_u32 s33, 0, s33                                     // 000000004794: 82212180
	s_waitcnt vmcnt(8)                                         // 000000004798: BF8C0F78
	s_barrier                                                  // 00000000479C: BF8A0000
	v_mfma_f32_16x16x32_fp8_fp8 v[96:99], a[64:65], v[224:225], 0// 0000000047A0: D3F30060 0A03C140
	v_mfma_f32_16x16x32_fp8_fp8 v[96:99], a[66:67], v[226:227], v[96:99]// 0000000047A8: D3F30060 0D83C542
	buffer_load_dwordx4 a[0:3], v44, s[24:27], 0 offen         // 0000000047B0: E05C1000 8086002C
	v_mfma_f32_16x16x32_fp8_fp8 v[96:99], a[68:69], v[228:229], v[96:99]// 0000000047B8: D3F30060 0D83C944
	v_mfma_f32_16x16x32_fp8_fp8 v[96:99], a[70:71], v[230:231], v[96:99]// 0000000047C0: D3F30060 0D83CD46
	buffer_load_dword v23, v11, s[32:35], 0 offen              // 0000000047C8: E0501000 8008170B
	v_mfma_f32_16x16x32_fp8_fp8 v[100:103], a[64:65], v[240:241], 0// 0000000047D0: D3F30064 0A03E140
	v_mfma_f32_16x16x32_fp8_fp8 v[100:103], a[66:67], v[242:243], v[100:103]// 0000000047D8: D3F30064 0D93E542
	buffer_load_dwordx4 a[4:7], v44, s[24:27], 0 offen offset:1024// 0000000047E0: E05C1400 8086042C
	v_mfma_f32_16x16x32_fp8_fp8 v[100:103], a[68:69], v[244:245], v[100:103]// 0000000047E8: D3F30064 0D93E944
	v_mfma_f32_16x16x32_fp8_fp8 v[100:103], a[70:71], v[246:247], v[100:103]// 0000000047F0: D3F30064 0D93ED46
	v_mfma_f32_16x16x32_fp8_fp8 v[104:107], a[80:81], v[224:225], 0// 0000000047F8: D3F30068 0A03C150
	v_mfma_f32_16x16x32_fp8_fp8 v[104:107], a[82:83], v[226:227], v[104:107]// 000000004800: D3F30068 0DA3C552
	buffer_load_dwordx4 a[16:19], v45, s[24:27], 0 offen       // 000000004808: E05C1000 8086102D
	v_mfma_f32_16x16x32_fp8_fp8 v[104:107], a[84:85], v[228:229], v[104:107]// 000000004810: D3F30068 0DA3C954
	v_mfma_f32_16x16x32_fp8_fp8 v[104:107], a[86:87], v[230:231], v[104:107]// 000000004818: D3F30068 0DA3CD56
	v_mfma_f32_16x16x32_fp8_fp8 v[108:111], a[80:81], v[240:241], 0// 000000004820: D3F3006C 0A03E150
	v_mfma_f32_16x16x32_fp8_fp8 v[108:111], a[82:83], v[242:243], v[108:111]// 000000004828: D3F3006C 0DB3E552
	buffer_load_dwordx4 a[20:23], v45, s[24:27], 0 offen offset:1024// 000000004830: E05C1400 8086142D
	v_mfma_f32_16x16x32_fp8_fp8 v[108:111], a[84:85], v[244:245], v[108:111]// 000000004838: D3F3006C 0DB3E954
	v_mfma_f32_16x16x32_fp8_fp8 v[108:111], a[86:87], v[246:247], v[108:111]// 000000004840: D3F3006C 0DB3ED56
	v_mfma_f32_16x16x32_fp8_fp8 v[112:115], a[96:97], v[224:225], 0// 000000004848: D3F30070 0A03C160
	v_mfma_f32_16x16x32_fp8_fp8 v[112:115], a[98:99], v[226:227], v[112:115]// 000000004850: D3F30070 0DC3C562
	buffer_load_dwordx4 a[32:35], v46, s[24:27], 0 offen       // 000000004858: E05C1000 8086202E
	v_mfma_f32_16x16x32_fp8_fp8 v[112:115], a[100:101], v[228:229], v[112:115]// 000000004860: D3F30070 0DC3C964
	v_mfma_f32_16x16x32_fp8_fp8 v[112:115], a[102:103], v[230:231], v[112:115]// 000000004868: D3F30070 0DC3CD66
	v_mfma_f32_16x16x32_fp8_fp8 v[116:119], a[96:97], v[240:241], 0// 000000004870: D3F30074 0A03E160
	v_mfma_f32_16x16x32_fp8_fp8 v[116:119], a[98:99], v[242:243], v[116:119]// 000000004878: D3F30074 0DD3E562
	buffer_load_dwordx4 a[36:39], v46, s[24:27], 0 offen offset:1024// 000000004880: E05C1400 8086242E
	v_mfma_f32_16x16x32_fp8_fp8 v[116:119], a[100:101], v[244:245], v[116:119]// 000000004888: D3F30074 0DD3E964
	v_mfma_f32_16x16x32_fp8_fp8 v[116:119], a[102:103], v[246:247], v[116:119]// 000000004890: D3F30074 0DD3ED66
	v_mfma_f32_16x16x32_fp8_fp8 v[120:123], a[112:113], v[224:225], 0// 000000004898: D3F30078 0A03C170
	v_mfma_f32_16x16x32_fp8_fp8 v[120:123], a[114:115], v[226:227], v[120:123]// 0000000048A0: D3F30078 0DE3C572
	buffer_load_dwordx4 a[48:51], v47, s[24:27], 0 offen       // 0000000048A8: E05C1000 8086302F
	v_mfma_f32_16x16x32_fp8_fp8 v[120:123], a[116:117], v[228:229], v[120:123]// 0000000048B0: D3F30078 0DE3C974
	v_mfma_f32_16x16x32_fp8_fp8 v[120:123], a[118:119], v[230:231], v[120:123]// 0000000048B8: D3F30078 0DE3CD76
	v_mfma_f32_16x16x32_fp8_fp8 v[124:127], a[112:113], v[240:241], 0// 0000000048C0: D3F3007C 0A03E170
	v_mfma_f32_16x16x32_fp8_fp8 v[124:127], a[114:115], v[242:243], v[124:127]// 0000000048C8: D3F3007C 0DF3E572
	buffer_load_dwordx4 a[52:55], v47, s[24:27], 0 offen offset:1024// 0000000048D0: E05C1400 8086342F
	v_mfma_f32_16x16x32_fp8_fp8 v[124:127], a[116:117], v[244:245], v[124:127]// 0000000048D8: D3F3007C 0DF3E974
	v_mfma_f32_16x16x32_fp8_fp8 v[124:127], a[118:119], v[246:247], v[124:127]// 0000000048E0: D3F3007C 0DF3ED76
	v_mul_f32_dpp v56, v24, v19 row_newbcast:0 row_mask:0xf bank_mask:0xf// 0000000048E8: 0A7026FA FF015018
	v_mov_b32_e32 v57, v56                                     // 0000000048F0: 7E720338
	v_pk_fma_f32 v[64:65], v[96:97], v[56:57], v[64:65]        // 0000000048F4: D3B04040 1D027160
	v_pk_fma_f32 v[66:67], v[98:99], v[56:57], v[66:67]        // 0000000048FC: D3B04042 1D0A7162
	v_pk_fma_f32 v[72:73], v[104:105], v[56:57], v[72:73]      // 000000004904: D3B04048 1D227168
	v_pk_fma_f32 v[74:75], v[106:107], v[56:57], v[74:75]      // 00000000490C: D3B0404A 1D2A716A
	v_mul_f32_dpp v56, v24, v19 row_newbcast:1 row_mask:0xf bank_mask:0xf// 000000004914: 0A7026FA FF015118
	v_mov_b32_e32 v57, v56                                     // 00000000491C: 7E720338
	v_pk_fma_f32 v[80:81], v[112:113], v[56:57], v[80:81]      // 000000004920: D3B04050 1D427170
	v_pk_fma_f32 v[82:83], v[114:115], v[56:57], v[82:83]      // 000000004928: D3B04052 1D4A7172
	v_pk_fma_f32 v[88:89], v[120:121], v[56:57], v[88:89]      // 000000004930: D3B04058 1D627178
	v_pk_fma_f32 v[90:91], v[122:123], v[56:57], v[90:91]      // 000000004938: D3B0405A 1D6A717A
	v_mul_f32_dpp v56, v24, v20 row_newbcast:0 row_mask:0xf bank_mask:0xf// 000000004940: 0A7028FA FF015018
	v_mov_b32_e32 v57, v56                                     // 000000004948: 7E720338
	v_pk_fma_f32 v[68:69], v[100:101], v[56:57], v[68:69]      // 00000000494C: D3B04044 1D127164
	v_pk_fma_f32 v[70:71], v[102:103], v[56:57], v[70:71]      // 000000004954: D3B04046 1D1A7166
	v_pk_fma_f32 v[76:77], v[108:109], v[56:57], v[76:77]      // 00000000495C: D3B0404C 1D32716C
	v_pk_fma_f32 v[78:79], v[110:111], v[56:57], v[78:79]      // 000000004964: D3B0404E 1D3A716E
	v_mul_f32_dpp v56, v24, v20 row_newbcast:1 row_mask:0xf bank_mask:0xf// 00000000496C: 0A7028FA FF015118
	v_mov_b32_e32 v57, v56                                     // 000000004974: 7E720338
	v_pk_fma_f32 v[84:85], v[116:117], v[56:57], v[84:85]      // 000000004978: D3B04054 1D527174
	v_pk_fma_f32 v[86:87], v[118:119], v[56:57], v[86:87]      // 000000004980: D3B04056 1D5A7176
	v_pk_fma_f32 v[92:93], v[124:125], v[56:57], v[92:93]      // 000000004988: D3B0405C 1D72717C
	v_pk_fma_f32 v[94:95], v[126:127], v[56:57], v[94:95]      // 000000004990: D3B0405E 1D7A717E
	s_waitcnt vmcnt(13)                                        // 000000004998: BF8C0F7D
	v_mfma_f32_16x16x32_fp8_fp8 v[96:99], a[72:73], v[232:233], 0// 00000000499C: D3F30060 0A03D148
	v_mfma_f32_16x16x32_fp8_fp8 v[96:99], a[74:75], v[234:235], v[96:99]// 0000000049A4: D3F30060 0D83D54A
	buffer_load_dwordx4 a[8:11], v44, s[24:27], 0 offen offset:2048// 0000000049AC: E05C1800 8086082C
	v_mfma_f32_16x16x32_fp8_fp8 v[96:99], a[76:77], v[236:237], v[96:99]// 0000000049B4: D3F30060 0D83D94C
	v_mfma_f32_16x16x32_fp8_fp8 v[96:99], a[78:79], v[238:239], v[96:99]// 0000000049BC: D3F30060 0D83DD4E
	ds_read_b128 v[192:195], v2                                // 0000000049C4: D9FE0000 C0000002
	ds_read_b32 v15, v3 offset:8320                            // 0000000049CC: D86C2080 0F000003
	v_mfma_f32_16x16x32_fp8_fp8 v[100:103], a[72:73], v[248:249], 0// 0000000049D4: D3F30064 0A03F148
	v_mfma_f32_16x16x32_fp8_fp8 v[100:103], a[74:75], v[250:251], v[100:103]// 0000000049DC: D3F30064 0D93F54A
	buffer_load_dwordx4 a[12:15], v44, s[24:27], 0 offen offset:3072// 0000000049E4: E05C1C00 80860C2C
	v_mfma_f32_16x16x32_fp8_fp8 v[100:103], a[76:77], v[252:253], v[100:103]// 0000000049EC: D3F30064 0D93F94C
	v_mfma_f32_16x16x32_fp8_fp8 v[100:103], a[78:79], v[254:255], v[100:103]// 0000000049F4: D3F30064 0D93FD4E
	ds_read_b128 v[196:199], v2 offset:64                      // 0000000049FC: D9FE0040 C4000002
	ds_read_b32 v16, v3 offset:8576                            // 000000004A04: D86C2180 10000003
	v_mfma_f32_16x16x32_fp8_fp8 v[104:107], a[88:89], v[232:233], 0// 000000004A0C: D3F30068 0A03D158
	v_mfma_f32_16x16x32_fp8_fp8 v[104:107], a[90:91], v[234:235], v[104:107]// 000000004A14: D3F30068 0DA3D55A
	buffer_load_dwordx4 a[24:27], v45, s[24:27], 0 offen offset:2048// 000000004A1C: E05C1800 8086182D
	v_mfma_f32_16x16x32_fp8_fp8 v[104:107], a[92:93], v[236:237], v[104:107]// 000000004A24: D3F30068 0DA3D95C
	v_mfma_f32_16x16x32_fp8_fp8 v[104:107], a[94:95], v[238:239], v[104:107]// 000000004A2C: D3F30068 0DA3DD5E
	ds_read_b128 v[200:203], v2 offset:128                     // 000000004A34: D9FE0080 C8000002
	ds_read_b32 v17, v3 offset:8832                            // 000000004A3C: D86C2280 11000003
	v_mfma_f32_16x16x32_fp8_fp8 v[108:111], a[88:89], v[248:249], 0// 000000004A44: D3F3006C 0A03F158
	v_mfma_f32_16x16x32_fp8_fp8 v[108:111], a[90:91], v[250:251], v[108:111]// 000000004A4C: D3F3006C 0DB3F55A
	buffer_load_dwordx4 a[28:31], v45, s[24:27], 0 offen offset:3072// 000000004A54: E05C1C00 80861C2D
	v_mfma_f32_16x16x32_fp8_fp8 v[108:111], a[92:93], v[252:253], v[108:111]// 000000004A5C: D3F3006C 0DB3F95C
	v_mfma_f32_16x16x32_fp8_fp8 v[108:111], a[94:95], v[254:255], v[108:111]// 000000004A64: D3F3006C 0DB3FD5E
	ds_read_b128 v[204:207], v2 offset:192                     // 000000004A6C: D9FE00C0 CC000002
	ds_read_b32 v18, v3 offset:9088                            // 000000004A74: D86C2380 12000003
	s_waitcnt vmcnt(13)                                        // 000000004A7C: BF8C0F7D
	v_mfma_f32_16x16x32_fp8_fp8 v[112:115], a[104:105], v[232:233], 0// 000000004A80: D3F30070 0A03D168
	v_mfma_f32_16x16x32_fp8_fp8 v[112:115], a[106:107], v[234:235], v[112:115]// 000000004A88: D3F30070 0DC3D56A
	buffer_load_dwordx4 a[40:43], v46, s[24:27], 0 offen offset:2048// 000000004A90: E05C1800 8086282E
	v_mfma_f32_16x16x32_fp8_fp8 v[112:115], a[108:109], v[236:237], v[112:115]// 000000004A98: D3F30070 0DC3D96C
	v_mfma_f32_16x16x32_fp8_fp8 v[112:115], a[110:111], v[238:239], v[112:115]// 000000004AA0: D3F30070 0DC3DD6E
	ds_read_b128 v[208:211], v2 offset:1024                    // 000000004AA8: D9FE0400 D0000002
	v_mfma_f32_16x16x32_fp8_fp8 v[116:119], a[104:105], v[248:249], 0// 000000004AB0: D3F30074 0A03F168
	v_mfma_f32_16x16x32_fp8_fp8 v[116:119], a[106:107], v[250:251], v[116:119]// 000000004AB8: D3F30074 0DD3F56A
	buffer_load_dwordx4 a[44:47], v46, s[24:27], 0 offen offset:3072// 000000004AC0: E05C1C00 80862C2E
	v_mfma_f32_16x16x32_fp8_fp8 v[116:119], a[108:109], v[252:253], v[116:119]// 000000004AC8: D3F30074 0DD3F96C
	v_mfma_f32_16x16x32_fp8_fp8 v[116:119], a[110:111], v[254:255], v[116:119]// 000000004AD0: D3F30074 0DD3FD6E
	ds_read_b128 v[212:215], v2 offset:1088                    // 000000004AD8: D9FE0440 D4000002
	v_mfma_f32_16x16x32_fp8_fp8 v[120:123], a[120:121], v[232:233], 0// 000000004AE0: D3F30078 0A03D178
	v_mfma_f32_16x16x32_fp8_fp8 v[120:123], a[122:123], v[234:235], v[120:123]// 000000004AE8: D3F30078 0DE3D57A
	buffer_load_dwordx4 a[56:59], v47, s[24:27], 0 offen offset:2048// 000000004AF0: E05C1800 8086382F
	v_mfma_f32_16x16x32_fp8_fp8 v[120:123], a[124:125], v[236:237], v[120:123]// 000000004AF8: D3F30078 0DE3D97C
	v_mfma_f32_16x16x32_fp8_fp8 v[120:123], a[126:127], v[238:239], v[120:123]// 000000004B00: D3F30078 0DE3DD7E
	ds_read_b128 v[216:219], v2 offset:1152                    // 000000004B08: D9FE0480 D8000002
	v_mfma_f32_16x16x32_fp8_fp8 v[124:127], a[120:121], v[248:249], 0// 000000004B10: D3F3007C 0A03F178
	v_mfma_f32_16x16x32_fp8_fp8 v[124:127], a[122:123], v[250:251], v[124:127]// 000000004B18: D3F3007C 0DF3F57A
	buffer_load_dwordx4 a[60:63], v47, s[24:27], 0 offen offset:3072// 000000004B20: E05C1C00 80863C2F
	v_mfma_f32_16x16x32_fp8_fp8 v[124:127], a[124:125], v[252:253], v[124:127]// 000000004B28: D3F3007C 0DF3F97C
	v_mfma_f32_16x16x32_fp8_fp8 v[124:127], a[126:127], v[254:255], v[124:127]// 000000004B30: D3F3007C 0DF3FD7E
	ds_read_b128 v[220:223], v2 offset:1216                    // 000000004B38: D9FE04C0 DC000002
	v_mul_f32_dpp v56, v24, v21 row_newbcast:2 row_mask:0xf bank_mask:0xf// 000000004B40: 0A702AFA FF015218
	v_mov_b32_e32 v57, v56                                     // 000000004B48: 7E720338
	v_pk_fma_f32 v[64:65], v[96:97], v[56:57], v[64:65]        // 000000004B4C: D3B04040 1D027160
	v_pk_fma_f32 v[66:67], v[98:99], v[56:57], v[66:67]        // 000000004B54: D3B04042 1D0A7162
	v_pk_fma_f32 v[72:73], v[104:105], v[56:57], v[72:73]      // 000000004B5C: D3B04048 1D227168
	v_pk_fma_f32 v[74:75], v[106:107], v[56:57], v[74:75]      // 000000004B64: D3B0404A 1D2A716A
	v_mul_f32_dpp v56, v24, v21 row_newbcast:3 row_mask:0xf bank_mask:0xf// 000000004B6C: 0A702AFA FF015318
	v_mov_b32_e32 v57, v56                                     // 000000004B74: 7E720338
	v_pk_fma_f32 v[80:81], v[112:113], v[56:57], v[80:81]      // 000000004B78: D3B04050 1D427170
	v_pk_fma_f32 v[82:83], v[114:115], v[56:57], v[82:83]      // 000000004B80: D3B04052 1D4A7172
	v_pk_fma_f32 v[88:89], v[120:121], v[56:57], v[88:89]      // 000000004B88: D3B04058 1D627178
	v_pk_fma_f32 v[90:91], v[122:123], v[56:57], v[90:91]      // 000000004B90: D3B0405A 1D6A717A
	v_mul_f32_dpp v56, v24, v22 row_newbcast:2 row_mask:0xf bank_mask:0xf// 000000004B98: 0A702CFA FF015218
	v_mov_b32_e32 v57, v56                                     // 000000004BA0: 7E720338
	v_pk_fma_f32 v[68:69], v[100:101], v[56:57], v[68:69]      // 000000004BA4: D3B04044 1D127164
	v_pk_fma_f32 v[70:71], v[102:103], v[56:57], v[70:71]      // 000000004BAC: D3B04046 1D1A7166
	v_pk_fma_f32 v[76:77], v[108:109], v[56:57], v[76:77]      // 000000004BB4: D3B0404C 1D32716C
	v_pk_fma_f32 v[78:79], v[110:111], v[56:57], v[78:79]      // 000000004BBC: D3B0404E 1D3A716E
	v_mul_f32_dpp v56, v24, v22 row_newbcast:3 row_mask:0xf bank_mask:0xf// 000000004BC4: 0A702CFA FF015318
	v_mov_b32_e32 v57, v56                                     // 000000004BCC: 7E720338
	v_pk_fma_f32 v[84:85], v[116:117], v[56:57], v[84:85]      // 000000004BD0: D3B04054 1D527174
	v_pk_fma_f32 v[86:87], v[118:119], v[56:57], v[86:87]      // 000000004BD8: D3B04056 1D5A7176
	v_pk_fma_f32 v[92:93], v[124:125], v[56:57], v[92:93]      // 000000004BE0: D3B0405C 1D72717C
	v_pk_fma_f32 v[94:95], v[126:127], v[56:57], v[94:95]      // 000000004BE8: D3B0405E 1D7A717E
	s_add_u32 s60, 0x200, s80                                  // 000000004BF0: 803C50FF 00000200
	s_cmp_lt_u32 s60, s81                                      // 000000004BF8: BF0A513C
	s_cselect_b32 s57, s57, 0                                  // 000000004BFC: 85398039
	s_cselect_b32 s3, s3, 0                                    // 000000004C00: 85038003
	s_add_u32 s60, 0x200, s80                                  // 000000004C04: 803C50FF 00000200
	s_cmp_lt_u32 s60, s81                                      // 000000004C0C: BF0A513C
	s_cselect_b32 s58, s58, 0                                  // 000000004C10: 853A803A
	s_add_u32 s20, s57, s20                                    // 000000004C14: 80141439
	s_addc_u32 s21, 0, s21                                     // 000000004C18: 82151580
	s_add_u32 s28, s3, s28                                     // 000000004C1C: 801C1C03
	s_addc_u32 s29, 0, s29                                     // 000000004C20: 821D1D80
	s_add_u32 s24, s58, s24                                    // 000000004C24: 8018183A
	s_addc_u32 s25, 0, s25                                     // 000000004C28: 82191980
	s_add_u32 s92, s90, s92                                    // 000000004C2C: 805C5C5A
	s_addc_u32 s93, 0, s93                                     // 000000004C30: 825D5D80
	s_addk_i32 s80, 0x100                                      // 000000004C34: B7500100
	s_cmp_lt_i32 s80, s81                                      // 000000004C38: BF045150
	s_cbranch_scc0 label_0791                                  // 000000004C3C: BF840001
	s_branch label_02F0                                        // 000000004C40: BF82FB5F

0000000000004c44 <label_0791>:
	s_mov_b32 s36, -1                                          // 000000004C44: BEA400C1
	s_mov_b32 s37, -1                                          // 000000004C48: BEA500C1
	s_mov_b64 s[60:61], 0                                      // 000000004C4C: BEBC0180
	s_cmp_lt_u32 s82, s66                                      // 000000004C50: BF0A4252
	s_cselect_b64 s[20:21], s[36:37], s[60:61]                 // 000000004C54: 85943C24
	s_cmp_lt_u32 s83, s66                                      // 000000004C58: BF0A4253
	s_cselect_b64 s[22:23], s[36:37], s[60:61]                 // 000000004C5C: 85963C24
	s_cmp_lt_u32 s84, s66                                      // 000000004C60: BF0A4254
	s_cselect_b64 s[24:25], s[36:37], s[60:61]                 // 000000004C64: 85983C24
	s_cmp_lt_u32 s85, s66                                      // 000000004C68: BF0A4255
	s_cselect_b64 s[26:27], s[36:37], s[60:61]                 // 000000004C6C: 859A3C24
	s_cmp_lt_u32 s86, s66                                      // 000000004C70: BF0A4256
	s_cselect_b64 s[28:29], s[36:37], s[60:61]                 // 000000004C74: 859C3C24
	s_cmp_lt_u32 s87, s66                                      // 000000004C78: BF0A4257
	s_cselect_b64 s[30:31], s[36:37], s[60:61]                 // 000000004C7C: 859E3C24
	s_cmp_lt_u32 s88, s66                                      // 000000004C80: BF0A4258
	s_cselect_b64 s[32:33], s[36:37], s[60:61]                 // 000000004C84: 85A03C24
	s_cmp_lt_u32 s89, s66                                      // 000000004C88: BF0A4259
	s_cselect_b64 s[34:35], s[36:37], s[60:61]                 // 000000004C8C: 85A23C24
	s_waitcnt vmcnt(12)                                        // 000000004C90: BF8C0F7C
	buffer_load_dwordx4 a[0:3], v48, s[12:15], 0 offen         // 000000004C94: E05C1000 80830030
	v_mul_f32_e64 v56, -v128, s6                               // 000000004C9C: D1050038 20000D80
	v_mul_f32_e64 v57, -v129, s6                               // 000000004CA4: D1050039 20000D81
	v_mul_f32_e64 v58, -v130, s6                               // 000000004CAC: D105003A 20000D82
	v_mul_f32_e64 v59, -v131, s6                               // 000000004CB4: D105003B 20000D83
	v_exp_f32_e32 v56, v56                                     // 000000004CBC: 7E704138
	v_exp_f32_e32 v57, v57                                     // 000000004CC0: 7E724139
	v_exp_f32_e32 v58, v58                                     // 000000004CC4: 7E74413A
	v_exp_f32_e32 v59, v59                                     // 000000004CC8: 7E76413B
	buffer_load_dwordx4 a[4:7], v49, s[12:15], 0 offen         // 000000004CCC: E05C1000 80830431
	v_add_f32_e64 v56, v56, 1.0                                // 000000004CD4: D1010038 0001E538
	v_add_f32_e64 v57, v57, 1.0                                // 000000004CDC: D1010039 0001E539
	v_add_f32_e64 v58, v58, 1.0                                // 000000004CE4: D101003A 0001E53A
	v_add_f32_e64 v59, v59, 1.0                                // 000000004CEC: D101003B 0001E53B
	v_rcp_f32_e32 v56, v56                                     // 000000004CF4: 7E704538
	v_rcp_f32_e32 v57, v57                                     // 000000004CF8: 7E724539
	v_rcp_f32_e32 v58, v58                                     // 000000004CFC: 7E74453A
	v_rcp_f32_e32 v59, v59                                     // 000000004D00: 7E76453B
	v_mul_f32_e32 v128, v128, v56                              // 000000004D04: 0B007180
	v_mul_f32_e32 v129, v129, v57                              // 000000004D08: 0B027381
	v_mul_f32_e32 v130, v130, v58                              // 000000004D0C: 0B047582
	v_mul_f32_e32 v131, v131, v59                              // 000000004D10: 0B067783
	v_mul_f32_e32 v128, v128, v64                              // 000000004D14: 0B008180
	v_mul_f32_e32 v129, v129, v65                              // 000000004D18: 0B028381
	v_mul_f32_e32 v130, v130, v66                              // 000000004D1C: 0B048582
	v_mul_f32_e32 v131, v131, v67                              // 000000004D20: 0B068783
	buffer_load_dwordx4 a[8:11], v50, s[12:15], 0 offen        // 000000004D24: E05C1000 80830832
	v_mul_f32_e64 v56, -v132, s6                               // 000000004D2C: D1050038 20000D84
	v_mul_f32_e64 v57, -v133, s6                               // 000000004D34: D1050039 20000D85
	v_mul_f32_e64 v58, -v134, s6                               // 000000004D3C: D105003A 20000D86
	v_mul_f32_e64 v59, -v135, s6                               // 000000004D44: D105003B 20000D87
	v_exp_f32_e32 v56, v56                                     // 000000004D4C: 7E704138
	v_exp_f32_e32 v57, v57                                     // 000000004D50: 7E724139
	v_exp_f32_e32 v58, v58                                     // 000000004D54: 7E74413A
	v_exp_f32_e32 v59, v59                                     // 000000004D58: 7E76413B
	buffer_load_dwordx4 a[12:15], v51, s[12:15], 0 offen       // 000000004D5C: E05C1000 80830C33
	s_add_u32 s12, s78, s12                                    // 000000004D64: 800C0C4E
	s_addc_u32 s13, 0, s13                                     // 000000004D68: 820D0D80
	v_add_f32_e64 v56, v56, 1.0                                // 000000004D6C: D1010038 0001E538
	v_add_f32_e64 v57, v57, 1.0                                // 000000004D74: D1010039 0001E539
	v_add_f32_e64 v58, v58, 1.0                                // 000000004D7C: D101003A 0001E53A
	v_add_f32_e64 v59, v59, 1.0                                // 000000004D84: D101003B 0001E53B
	v_rcp_f32_e32 v56, v56                                     // 000000004D8C: 7E704538
	v_rcp_f32_e32 v57, v57                                     // 000000004D90: 7E724539
	v_rcp_f32_e32 v58, v58                                     // 000000004D94: 7E74453A
	v_rcp_f32_e32 v59, v59                                     // 000000004D98: 7E76453B
	v_mul_f32_e32 v132, v132, v56                              // 000000004D9C: 0B087184
	v_mul_f32_e32 v133, v133, v57                              // 000000004DA0: 0B0A7385
	v_mul_f32_e32 v134, v134, v58                              // 000000004DA4: 0B0C7586
	v_mul_f32_e32 v135, v135, v59                              // 000000004DA8: 0B0E7787
	v_mul_f32_e32 v132, v132, v68                              // 000000004DAC: 0B088984
	v_mul_f32_e32 v133, v133, v69                              // 000000004DB0: 0B0A8B85
	v_mul_f32_e32 v134, v134, v70                              // 000000004DB4: 0B0C8D86
	v_mul_f32_e32 v135, v135, v71                              // 000000004DB8: 0B0E8F87
	s_waitcnt vmcnt(12)                                        // 000000004DBC: BF8C0F7C
	buffer_load_dwordx4 a[16:19], v48, s[12:15], 0 offen       // 000000004DC0: E05C1000 80831030
	v_mul_f32_e64 v56, -v136, s6                               // 000000004DC8: D1050038 20000D88
	v_mul_f32_e64 v57, -v137, s6                               // 000000004DD0: D1050039 20000D89
	v_mul_f32_e64 v58, -v138, s6                               // 000000004DD8: D105003A 20000D8A
	v_mul_f32_e64 v59, -v139, s6                               // 000000004DE0: D105003B 20000D8B
	v_exp_f32_e32 v56, v56                                     // 000000004DE8: 7E704138
	v_exp_f32_e32 v57, v57                                     // 000000004DEC: 7E724139
	v_exp_f32_e32 v58, v58                                     // 000000004DF0: 7E74413A
	v_exp_f32_e32 v59, v59                                     // 000000004DF4: 7E76413B
	buffer_load_dwordx4 a[20:23], v49, s[12:15], 0 offen       // 000000004DF8: E05C1000 80831431
	v_add_f32_e64 v56, v56, 1.0                                // 000000004E00: D1010038 0001E538
	v_add_f32_e64 v57, v57, 1.0                                // 000000004E08: D1010039 0001E539
	v_add_f32_e64 v58, v58, 1.0                                // 000000004E10: D101003A 0001E53A
	v_add_f32_e64 v59, v59, 1.0                                // 000000004E18: D101003B 0001E53B
	v_rcp_f32_e32 v56, v56                                     // 000000004E20: 7E704538
	v_rcp_f32_e32 v57, v57                                     // 000000004E24: 7E724539
	v_rcp_f32_e32 v58, v58                                     // 000000004E28: 7E74453A
	v_rcp_f32_e32 v59, v59                                     // 000000004E2C: 7E76453B
	v_mul_f32_e32 v136, v136, v56                              // 000000004E30: 0B107188
	v_mul_f32_e32 v137, v137, v57                              // 000000004E34: 0B127389
	v_mul_f32_e32 v138, v138, v58                              // 000000004E38: 0B14758A
	v_mul_f32_e32 v139, v139, v59                              // 000000004E3C: 0B16778B
	v_mul_f32_e32 v136, v136, v72                              // 000000004E40: 0B109188
	v_mul_f32_e32 v137, v137, v73                              // 000000004E44: 0B129389
	v_mul_f32_e32 v138, v138, v74                              // 000000004E48: 0B14958A
	v_mul_f32_e32 v139, v139, v75                              // 000000004E4C: 0B16978B
	buffer_load_dwordx4 a[24:27], v50, s[12:15], 0 offen       // 000000004E50: E05C1000 80831832
	v_mul_f32_e64 v56, -v140, s6                               // 000000004E58: D1050038 20000D8C
	v_mul_f32_e64 v57, -v141, s6                               // 000000004E60: D1050039 20000D8D
	v_mul_f32_e64 v58, -v142, s6                               // 000000004E68: D105003A 20000D8E
	v_mul_f32_e64 v59, -v143, s6                               // 000000004E70: D105003B 20000D8F
	v_exp_f32_e32 v56, v56                                     // 000000004E78: 7E704138
	v_exp_f32_e32 v57, v57                                     // 000000004E7C: 7E724139
	v_exp_f32_e32 v58, v58                                     // 000000004E80: 7E74413A
	v_exp_f32_e32 v59, v59                                     // 000000004E84: 7E76413B
	buffer_load_dwordx4 a[28:31], v51, s[12:15], 0 offen       // 000000004E88: E05C1000 80831C33
	s_add_u32 s12, s78, s12                                    // 000000004E90: 800C0C4E
	s_addc_u32 s13, 0, s13                                     // 000000004E94: 820D0D80
	v_add_f32_e64 v56, v56, 1.0                                // 000000004E98: D1010038 0001E538
	v_add_f32_e64 v57, v57, 1.0                                // 000000004EA0: D1010039 0001E539
	v_add_f32_e64 v58, v58, 1.0                                // 000000004EA8: D101003A 0001E53A
	v_add_f32_e64 v59, v59, 1.0                                // 000000004EB0: D101003B 0001E53B
	v_rcp_f32_e32 v56, v56                                     // 000000004EB8: 7E704538
	v_rcp_f32_e32 v57, v57                                     // 000000004EBC: 7E724539
	v_rcp_f32_e32 v58, v58                                     // 000000004EC0: 7E74453A
	v_rcp_f32_e32 v59, v59                                     // 000000004EC4: 7E76453B
	v_mul_f32_e32 v140, v140, v56                              // 000000004EC8: 0B18718C
	v_mul_f32_e32 v141, v141, v57                              // 000000004ECC: 0B1A738D
	v_mul_f32_e32 v142, v142, v58                              // 000000004ED0: 0B1C758E
	v_mul_f32_e32 v143, v143, v59                              // 000000004ED4: 0B1E778F
	v_mul_f32_e32 v140, v140, v76                              // 000000004ED8: 0B18998C
	v_mul_f32_e32 v141, v141, v77                              // 000000004EDC: 0B1A9B8D
	v_mul_f32_e32 v142, v142, v78                              // 000000004EE0: 0B1C9D8E
	v_mul_f32_e32 v143, v143, v79                              // 000000004EE4: 0B1E9F8F
	s_waitcnt vmcnt(12)                                        // 000000004EE8: BF8C0F7C
	buffer_load_dwordx4 a[32:35], v48, s[12:15], 0 offen       // 000000004EEC: E05C1000 80832030
	v_mul_f32_e64 v56, -v144, s6                               // 000000004EF4: D1050038 20000D90
	v_mul_f32_e64 v57, -v145, s6                               // 000000004EFC: D1050039 20000D91
	v_mul_f32_e64 v58, -v146, s6                               // 000000004F04: D105003A 20000D92
	v_mul_f32_e64 v59, -v147, s6                               // 000000004F0C: D105003B 20000D93
	v_exp_f32_e32 v56, v56                                     // 000000004F14: 7E704138
	v_exp_f32_e32 v57, v57                                     // 000000004F18: 7E724139
	v_exp_f32_e32 v58, v58                                     // 000000004F1C: 7E74413A
	v_exp_f32_e32 v59, v59                                     // 000000004F20: 7E76413B
	buffer_load_dwordx4 a[36:39], v49, s[12:15], 0 offen       // 000000004F24: E05C1000 80832431
	v_add_f32_e64 v56, v56, 1.0                                // 000000004F2C: D1010038 0001E538
	v_add_f32_e64 v57, v57, 1.0                                // 000000004F34: D1010039 0001E539
	v_add_f32_e64 v58, v58, 1.0                                // 000000004F3C: D101003A 0001E53A
	v_add_f32_e64 v59, v59, 1.0                                // 000000004F44: D101003B 0001E53B
	v_rcp_f32_e32 v56, v56                                     // 000000004F4C: 7E704538
	v_rcp_f32_e32 v57, v57                                     // 000000004F50: 7E724539
	v_rcp_f32_e32 v58, v58                                     // 000000004F54: 7E74453A
	v_rcp_f32_e32 v59, v59                                     // 000000004F58: 7E76453B
	v_mul_f32_e32 v144, v144, v56                              // 000000004F5C: 0B207190
	v_mul_f32_e32 v145, v145, v57                              // 000000004F60: 0B227391
	v_mul_f32_e32 v146, v146, v58                              // 000000004F64: 0B247592
	v_mul_f32_e32 v147, v147, v59                              // 000000004F68: 0B267793
	v_mul_f32_e32 v144, v144, v80                              // 000000004F6C: 0B20A190
	v_mul_f32_e32 v145, v145, v81                              // 000000004F70: 0B22A391
	v_mul_f32_e32 v146, v146, v82                              // 000000004F74: 0B24A592
	v_mul_f32_e32 v147, v147, v83                              // 000000004F78: 0B26A793
	buffer_load_dwordx4 a[40:43], v50, s[12:15], 0 offen       // 000000004F7C: E05C1000 80832832
	v_mul_f32_e64 v56, -v148, s6                               // 000000004F84: D1050038 20000D94
	v_mul_f32_e64 v57, -v149, s6                               // 000000004F8C: D1050039 20000D95
	v_mul_f32_e64 v58, -v150, s6                               // 000000004F94: D105003A 20000D96
	v_mul_f32_e64 v59, -v151, s6                               // 000000004F9C: D105003B 20000D97
	v_exp_f32_e32 v56, v56                                     // 000000004FA4: 7E704138
	v_exp_f32_e32 v57, v57                                     // 000000004FA8: 7E724139
	v_exp_f32_e32 v58, v58                                     // 000000004FAC: 7E74413A
	v_exp_f32_e32 v59, v59                                     // 000000004FB0: 7E76413B
	buffer_load_dwordx4 a[44:47], v51, s[12:15], 0 offen       // 000000004FB4: E05C1000 80832C33
	s_add_u32 s12, s78, s12                                    // 000000004FBC: 800C0C4E
	s_addc_u32 s13, 0, s13                                     // 000000004FC0: 820D0D80
	v_add_f32_e64 v56, v56, 1.0                                // 000000004FC4: D1010038 0001E538
	v_add_f32_e64 v57, v57, 1.0                                // 000000004FCC: D1010039 0001E539
	v_add_f32_e64 v58, v58, 1.0                                // 000000004FD4: D101003A 0001E53A
	v_add_f32_e64 v59, v59, 1.0                                // 000000004FDC: D101003B 0001E53B
	v_rcp_f32_e32 v56, v56                                     // 000000004FE4: 7E704538
	v_rcp_f32_e32 v57, v57                                     // 000000004FE8: 7E724539
	v_rcp_f32_e32 v58, v58                                     // 000000004FEC: 7E74453A
	v_rcp_f32_e32 v59, v59                                     // 000000004FF0: 7E76453B
	v_mul_f32_e32 v148, v148, v56                              // 000000004FF4: 0B287194
	v_mul_f32_e32 v149, v149, v57                              // 000000004FF8: 0B2A7395
	v_mul_f32_e32 v150, v150, v58                              // 000000004FFC: 0B2C7596
	v_mul_f32_e32 v151, v151, v59                              // 000000005000: 0B2E7797
	v_mul_f32_e32 v148, v148, v84                              // 000000005004: 0B28A994
	v_mul_f32_e32 v149, v149, v85                              // 000000005008: 0B2AAB95
	v_mul_f32_e32 v150, v150, v86                              // 00000000500C: 0B2CAD96
	v_mul_f32_e32 v151, v151, v87                              // 000000005010: 0B2EAF97
	s_waitcnt vmcnt(12)                                        // 000000005014: BF8C0F7C
	buffer_load_dwordx4 a[48:51], v48, s[12:15], 0 offen       // 000000005018: E05C1000 80833030
	v_mul_f32_e64 v56, -v152, s6                               // 000000005020: D1050038 20000D98
	v_mul_f32_e64 v57, -v153, s6                               // 000000005028: D1050039 20000D99
	v_mul_f32_e64 v58, -v154, s6                               // 000000005030: D105003A 20000D9A
	v_mul_f32_e64 v59, -v155, s6                               // 000000005038: D105003B 20000D9B
	v_exp_f32_e32 v56, v56                                     // 000000005040: 7E704138
	v_exp_f32_e32 v57, v57                                     // 000000005044: 7E724139
	v_exp_f32_e32 v58, v58                                     // 000000005048: 7E74413A
	v_exp_f32_e32 v59, v59                                     // 00000000504C: 7E76413B
	buffer_load_dwordx4 a[52:55], v49, s[12:15], 0 offen       // 000000005050: E05C1000 80833431
	v_add_f32_e64 v56, v56, 1.0                                // 000000005058: D1010038 0001E538
	v_add_f32_e64 v57, v57, 1.0                                // 000000005060: D1010039 0001E539
	v_add_f32_e64 v58, v58, 1.0                                // 000000005068: D101003A 0001E53A
	v_add_f32_e64 v59, v59, 1.0                                // 000000005070: D101003B 0001E53B
	v_rcp_f32_e32 v56, v56                                     // 000000005078: 7E704538
	v_rcp_f32_e32 v57, v57                                     // 00000000507C: 7E724539
	v_rcp_f32_e32 v58, v58                                     // 000000005080: 7E74453A
	v_rcp_f32_e32 v59, v59                                     // 000000005084: 7E76453B
	v_mul_f32_e32 v152, v152, v56                              // 000000005088: 0B307198
	v_mul_f32_e32 v153, v153, v57                              // 00000000508C: 0B327399
	v_mul_f32_e32 v154, v154, v58                              // 000000005090: 0B34759A
	v_mul_f32_e32 v155, v155, v59                              // 000000005094: 0B36779B
	v_mul_f32_e32 v152, v152, v88                              // 000000005098: 0B30B198
	v_mul_f32_e32 v153, v153, v89                              // 00000000509C: 0B32B399
	v_mul_f32_e32 v154, v154, v90                              // 0000000050A0: 0B34B59A
	v_mul_f32_e32 v155, v155, v91                              // 0000000050A4: 0B36B79B
	buffer_load_dwordx4 a[56:59], v50, s[12:15], 0 offen       // 0000000050A8: E05C1000 80833832
	v_mul_f32_e64 v56, -v156, s6                               // 0000000050B0: D1050038 20000D9C
	v_mul_f32_e64 v57, -v157, s6                               // 0000000050B8: D1050039 20000D9D
	v_mul_f32_e64 v58, -v158, s6                               // 0000000050C0: D105003A 20000D9E
	v_mul_f32_e64 v59, -v159, s6                               // 0000000050C8: D105003B 20000D9F
	v_exp_f32_e32 v56, v56                                     // 0000000050D0: 7E704138
	v_exp_f32_e32 v57, v57                                     // 0000000050D4: 7E724139
	v_exp_f32_e32 v58, v58                                     // 0000000050D8: 7E74413A
	v_exp_f32_e32 v59, v59                                     // 0000000050DC: 7E76413B
	buffer_load_dwordx4 a[60:63], v51, s[12:15], 0 offen       // 0000000050E0: E05C1000 80833C33
	v_add_f32_e64 v56, v56, 1.0                                // 0000000050E8: D1010038 0001E538
	v_add_f32_e64 v57, v57, 1.0                                // 0000000050F0: D1010039 0001E539
	v_add_f32_e64 v58, v58, 1.0                                // 0000000050F8: D101003A 0001E53A
	v_add_f32_e64 v59, v59, 1.0                                // 000000005100: D101003B 0001E53B
	v_rcp_f32_e32 v56, v56                                     // 000000005108: 7E704538
	v_rcp_f32_e32 v57, v57                                     // 00000000510C: 7E724539
	v_rcp_f32_e32 v58, v58                                     // 000000005110: 7E74453A
	v_rcp_f32_e32 v59, v59                                     // 000000005114: 7E76453B
	v_mul_f32_e32 v156, v156, v56                              // 000000005118: 0B38719C
	v_mul_f32_e32 v157, v157, v57                              // 00000000511C: 0B3A739D
	v_mul_f32_e32 v158, v158, v58                              // 000000005120: 0B3C759E
	v_mul_f32_e32 v159, v159, v59                              // 000000005124: 0B3E779F
	v_mul_f32_e32 v156, v156, v92                              // 000000005128: 0B38B99C
	v_mul_f32_e32 v157, v157, v93                              // 00000000512C: 0B3ABB9D
	v_mul_f32_e32 v158, v158, v94                              // 000000005130: 0B3CBD9E
	v_mul_f32_e32 v159, v159, v95                              // 000000005134: 0B3EBF9F
	v_lshlrev_b32_e32 v56, 2, v0                               // 000000005138: 24700082
	s_mul_i32 s60, s82, s71                                    // 00000000513C: 923C4752
	v_add_u32_e64 v80, v56, s60                                // 000000005140: D1340050 00007938
	v_mov_b32_e32 v81, 0                                       // 000000005148: 7EA20280
	s_mul_i32 s60, s83, s71                                    // 00000000514C: 923C4753
	v_add_u32_e64 v82, v56, s60                                // 000000005150: D1340052 00007938
	v_mov_b32_e32 v83, 0                                       // 000000005158: 7EA60280
	s_mul_i32 s60, s84, s71                                    // 00000000515C: 923C4754
	v_add_u32_e64 v84, v56, s60                                // 000000005160: D1340054 00007938
	v_mov_b32_e32 v85, 0                                       // 000000005168: 7EAA0280
	s_mul_i32 s60, s85, s71                                    // 00000000516C: 923C4755
	v_add_u32_e64 v86, v56, s60                                // 000000005170: D1340056 00007938
	v_mov_b32_e32 v87, 0                                       // 000000005178: 7EAE0280
	s_mul_i32 s60, s86, s71                                    // 00000000517C: 923C4756
	v_add_u32_e64 v88, v56, s60                                // 000000005180: D1340058 00007938
	v_mov_b32_e32 v89, 0                                       // 000000005188: 7EB20280
	s_mul_i32 s60, s87, s71                                    // 00000000518C: 923C4757
	v_add_u32_e64 v90, v56, s60                                // 000000005190: D134005A 00007938
	v_mov_b32_e32 v91, 0                                       // 000000005198: 7EB60280
	s_mul_i32 s60, s88, s71                                    // 00000000519C: 923C4758
	v_add_u32_e64 v92, v56, s60                                // 0000000051A0: D134005C 00007938
	v_mov_b32_e32 v93, 0                                       // 0000000051A8: 7EBA0280
	s_mul_i32 s60, s89, s71                                    // 0000000051AC: 923C4759
	v_add_u32_e64 v94, v56, s60                                // 0000000051B0: D134005E 00007938
	v_mov_b32_e32 v95, 0                                       // 0000000051B8: 7EBE0280
	buffer_load_dword v23, v6, s[16:19], 0 offen               // 0000000051BC: E0501000 80041706
	v_mov_b32_e32 v28, 0x358637bd                              // 0000000051C4: 7E3802FF 358637BD
	v_mov_b32_e32 v29, 0x358637bd                              // 0000000051CC: 7E3A02FF 358637BD
	v_max3_f32 v28, |v128|, |v129|, v28                        // 0000000051D4: D1D3031C 04730380
	v_max3_f32 v28, |v130|, |v131|, v28                        // 0000000051DC: D1D3031C 04730782
	v_max3_f32 v29, |v132|, |v133|, v29                        // 0000000051E4: D1D3031D 04770B84
	v_max3_f32 v29, |v134|, |v135|, v29                        // 0000000051EC: D1D3031D 04770F86
	v_max3_f32 v28, |v136|, |v137|, v28                        // 0000000051F4: D1D3031C 04731388
	v_max3_f32 v28, |v138|, |v139|, v28                        // 0000000051FC: D1D3031C 0473178A
	v_max3_f32 v29, |v140|, |v141|, v29                        // 000000005204: D1D3031D 04771B8C
	v_max3_f32 v29, |v142|, |v143|, v29                        // 00000000520C: D1D3031D 04771F8E
	v_lshlrev_b32_e32 v56, 3, v0                               // 000000005214: 24700083
	s_mul_i32 s60, 0x200, s7                                   // 000000005218: 923C07FF 00000200
	v_add_u32_e32 v56, s60, v56                                // 000000005220: 6870703C
	ds_write_b64 v56, v[28:29] offset:18688                    // 000000005224: D89A4900 00001C38
	s_waitcnt lgkmcnt(0)                                       // 00000000522C: BF8CC07F
	s_barrier                                                  // 000000005230: BF8A0000
	v_and_b32_e32 v56, 15, v0                                  // 000000005234: 2670008F
	v_lshlrev_b32_e32 v56, 3, v56                              // 000000005238: 24707083
	ds_read_b64 v[96:97], v56 offset:18688                     // 00000000523C: D8EC4900 60000038
	ds_read_b64 v[98:99], v56 offset:18816                     // 000000005244: D8EC4980 62000038
	ds_read_b64 v[100:101], v56 offset:18944                   // 00000000524C: D8EC4A00 64000038
	ds_read_b64 v[102:103], v56 offset:19072                   // 000000005254: D8EC4A80 66000038
	ds_read_b64 v[104:105], v56 offset:19200                   // 00000000525C: D8EC4B00 68000038
	ds_read_b64 v[106:107], v56 offset:19328                   // 000000005264: D8EC4B80 6A000038
	ds_read_b64 v[108:109], v56 offset:19456                   // 00000000526C: D8EC4C00 6C000038
	ds_read_b64 v[110:111], v56 offset:19584                   // 000000005274: D8EC4C80 6E000038
	ds_read_b64 v[112:113], v56 offset:19712                   // 00000000527C: D8EC4D00 70000038
	ds_read_b64 v[114:115], v56 offset:19840                   // 000000005284: D8EC4D80 72000038
	ds_read_b64 v[116:117], v56 offset:19968                   // 00000000528C: D8EC4E00 74000038
	ds_read_b64 v[118:119], v56 offset:20096                   // 000000005294: D8EC4E80 76000038
	ds_read_b64 v[120:121], v56 offset:20224                   // 00000000529C: D8EC4F00 78000038
	ds_read_b64 v[122:123], v56 offset:20352                   // 0000000052A4: D8EC4F80 7A000038
	ds_read_b64 v[124:125], v56 offset:20480                   // 0000000052AC: D8EC5000 7C000038
	ds_read_b64 v[126:127], v56 offset:20608                   // 0000000052B4: D8EC5080 7E000038
	s_waitcnt lgkmcnt(0)                                       // 0000000052BC: BF8CC07F
	v_max3_f32 v28, |v96|, |v98|, v28                          // 0000000052C0: D1D3031C 0472C560
	v_max3_f32 v29, |v97|, |v99|, v29                          // 0000000052C8: D1D3031D 0476C761
	v_max3_f32 v28, |v100|, |v102|, v28                        // 0000000052D0: D1D3031C 0472CD64
	v_max3_f32 v29, |v101|, |v103|, v29                        // 0000000052D8: D1D3031D 0476CF65
	v_max3_f32 v28, |v104|, |v106|, v28                        // 0000000052E0: D1D3031C 0472D568
	v_max3_f32 v29, |v105|, |v107|, v29                        // 0000000052E8: D1D3031D 0476D769
	v_max3_f32 v28, |v108|, |v110|, v28                        // 0000000052F0: D1D3031C 0472DD6C
	v_max3_f32 v29, |v109|, |v111|, v29                        // 0000000052F8: D1D3031D 0476DF6D
	v_max3_f32 v28, |v112|, |v114|, v28                        // 000000005300: D1D3031C 0472E570
	v_max3_f32 v29, |v113|, |v115|, v29                        // 000000005308: D1D3031D 0476E771
	v_max3_f32 v28, |v116|, |v118|, v28                        // 000000005310: D1D3031C 0472ED74
	v_max3_f32 v29, |v117|, |v119|, v29                        // 000000005318: D1D3031D 0476EF75
	v_max3_f32 v28, |v120|, |v122|, v28                        // 000000005320: D1D3031C 0472F578
	v_max3_f32 v29, |v121|, |v123|, v29                        // 000000005328: D1D3031D 0476F779
	v_max3_f32 v28, |v124|, |v126|, v28                        // 000000005330: D1D3031C 0472FD7C
	v_max3_f32 v29, |v125|, |v127|, v29                        // 000000005338: D1D3031D 0476FF7D
	v_rcp_f32_e32 v28, v28                                     // 000000005340: 7E38451C
	v_rcp_f32_e32 v29, v29                                     // 000000005344: 7E3A451D
	v_mov_b32_e32 v56, 0x43700000                              // 000000005348: 7E7002FF 43700000
	v_mul_f32_e32 v28, v56, v28                                // 000000005350: 0A383938
	v_mul_f32_e32 v29, v56, v29                                // 000000005354: 0A3A3B38
	v_mul_f32_e32 v128, v28, v128                              // 000000005358: 0B01011C
	v_mul_f32_e32 v129, v28, v129                              // 00000000535C: 0B03031C
	v_mul_f32_e32 v130, v28, v130                              // 000000005360: 0B05051C
	v_mul_f32_e32 v131, v28, v131                              // 000000005364: 0B07071C
	v_cvt_pk_fp8_f32 v128, v128, v129                          // 000000005368: D2A20080 00030380
	v_cvt_pk_fp8_f32 v128, v130, v131 op_sel:[0,0,1]           // 000000005370: D2A24080 00030782
	v_mul_f32_e32 v132, v29, v132                              // 000000005378: 0B09091D
	v_mul_f32_e32 v133, v29, v133                              // 00000000537C: 0B0B0B1D
	v_mul_f32_e32 v134, v29, v134                              // 000000005380: 0B0D0D1D
	v_mul_f32_e32 v135, v29, v135                              // 000000005384: 0B0F0F1D
	v_cvt_pk_fp8_f32 v129, v132, v133                          // 000000005388: D2A20081 00030B84
	v_cvt_pk_fp8_f32 v129, v134, v135 op_sel:[0,0,1]           // 000000005390: D2A24081 00030F86
	v_mul_f32_e32 v136, v28, v136                              // 000000005398: 0B11111C
	v_mul_f32_e32 v137, v28, v137                              // 00000000539C: 0B13131C
	v_mul_f32_e32 v138, v28, v138                              // 0000000053A0: 0B15151C
	v_mul_f32_e32 v139, v28, v139                              // 0000000053A4: 0B17171C
	v_cvt_pk_fp8_f32 v130, v136, v137                          // 0000000053A8: D2A20082 00031388
	v_cvt_pk_fp8_f32 v130, v138, v139 op_sel:[0,0,1]           // 0000000053B0: D2A24082 0003178A
	v_mul_f32_e32 v140, v29, v140                              // 0000000053B8: 0B19191D
	v_mul_f32_e32 v141, v29, v141                              // 0000000053BC: 0B1B1B1D
	v_mul_f32_e32 v142, v29, v142                              // 0000000053C0: 0B1D1D1D
	v_mul_f32_e32 v143, v29, v143                              // 0000000053C4: 0B1F1F1D
	v_cvt_pk_fp8_f32 v131, v140, v141                          // 0000000053C8: D2A20083 00031B8C
	v_cvt_pk_fp8_f32 v131, v142, v143 op_sel:[0,0,1]           // 0000000053D0: D2A24083 00031F8E
	v_rcp_f32_e32 v32, v28                                     // 0000000053D8: 7E40451C
	v_rcp_f32_e32 v33, v29                                     // 0000000053DC: 7E42451D
	v_mov_b32_e32 v30, 0x358637bd                              // 0000000053E0: 7E3C02FF 358637BD
	v_mov_b32_e32 v31, 0x358637bd                              // 0000000053E8: 7E3E02FF 358637BD
	v_max3_f32 v30, |v144|, |v145|, v30                        // 0000000053F0: D1D3031E 047B2390
	v_max3_f32 v30, |v146|, |v147|, v30                        // 0000000053F8: D1D3031E 047B2792
	v_max3_f32 v31, |v148|, |v149|, v31                        // 000000005400: D1D3031F 047F2B94
	v_max3_f32 v31, |v150|, |v151|, v31                        // 000000005408: D1D3031F 047F2F96
	v_max3_f32 v30, |v152|, |v153|, v30                        // 000000005410: D1D3031E 047B3398
	v_max3_f32 v30, |v154|, |v155|, v30                        // 000000005418: D1D3031E 047B379A
	v_max3_f32 v31, |v156|, |v157|, v31                        // 000000005420: D1D3031F 047F3B9C
	v_max3_f32 v31, |v158|, |v159|, v31                        // 000000005428: D1D3031F 047F3F9E
	v_lshlrev_b32_e32 v56, 3, v0                               // 000000005430: 24700083
	s_mul_i32 s60, 0x200, s7                                   // 000000005434: 923C07FF 00000200
	v_add_u32_e32 v56, s60, v56                                // 00000000543C: 6870703C
	ds_write_b64 v56, v[30:31] offset:18688                    // 000000005440: D89A4900 00001E38
	s_waitcnt lgkmcnt(0)                                       // 000000005448: BF8CC07F
	s_barrier                                                  // 00000000544C: BF8A0000
	v_and_b32_e32 v56, 15, v0                                  // 000000005450: 2670008F
	v_lshlrev_b32_e32 v56, 3, v56                              // 000000005454: 24707083
	ds_read_b64 v[96:97], v56 offset:18688                     // 000000005458: D8EC4900 60000038
	ds_read_b64 v[98:99], v56 offset:18816                     // 000000005460: D8EC4980 62000038
	ds_read_b64 v[100:101], v56 offset:18944                   // 000000005468: D8EC4A00 64000038
	ds_read_b64 v[102:103], v56 offset:19072                   // 000000005470: D8EC4A80 66000038
	ds_read_b64 v[104:105], v56 offset:19200                   // 000000005478: D8EC4B00 68000038
	ds_read_b64 v[106:107], v56 offset:19328                   // 000000005480: D8EC4B80 6A000038
	ds_read_b64 v[108:109], v56 offset:19456                   // 000000005488: D8EC4C00 6C000038
	ds_read_b64 v[110:111], v56 offset:19584                   // 000000005490: D8EC4C80 6E000038
	ds_read_b64 v[112:113], v56 offset:19712                   // 000000005498: D8EC4D00 70000038
	ds_read_b64 v[114:115], v56 offset:19840                   // 0000000054A0: D8EC4D80 72000038
	ds_read_b64 v[116:117], v56 offset:19968                   // 0000000054A8: D8EC4E00 74000038
	ds_read_b64 v[118:119], v56 offset:20096                   // 0000000054B0: D8EC4E80 76000038
	ds_read_b64 v[120:121], v56 offset:20224                   // 0000000054B8: D8EC4F00 78000038
	ds_read_b64 v[122:123], v56 offset:20352                   // 0000000054C0: D8EC4F80 7A000038
	ds_read_b64 v[124:125], v56 offset:20480                   // 0000000054C8: D8EC5000 7C000038
	ds_read_b64 v[126:127], v56 offset:20608                   // 0000000054D0: D8EC5080 7E000038
	s_waitcnt lgkmcnt(0)                                       // 0000000054D8: BF8CC07F
	v_max3_f32 v30, |v96|, |v98|, v30                          // 0000000054DC: D1D3031E 047AC560
	v_max3_f32 v31, |v97|, |v99|, v31                          // 0000000054E4: D1D3031F 047EC761
	v_max3_f32 v30, |v100|, |v102|, v30                        // 0000000054EC: D1D3031E 047ACD64
	v_max3_f32 v31, |v101|, |v103|, v31                        // 0000000054F4: D1D3031F 047ECF65
	v_max3_f32 v30, |v104|, |v106|, v30                        // 0000000054FC: D1D3031E 047AD568
	v_max3_f32 v31, |v105|, |v107|, v31                        // 000000005504: D1D3031F 047ED769
	v_max3_f32 v30, |v108|, |v110|, v30                        // 00000000550C: D1D3031E 047ADD6C
	v_max3_f32 v31, |v109|, |v111|, v31                        // 000000005514: D1D3031F 047EDF6D
	v_max3_f32 v30, |v112|, |v114|, v30                        // 00000000551C: D1D3031E 047AE570
	v_max3_f32 v31, |v113|, |v115|, v31                        // 000000005524: D1D3031F 047EE771
	v_max3_f32 v30, |v116|, |v118|, v30                        // 00000000552C: D1D3031E 047AED74
	v_max3_f32 v31, |v117|, |v119|, v31                        // 000000005534: D1D3031F 047EEF75
	v_max3_f32 v30, |v120|, |v122|, v30                        // 00000000553C: D1D3031E 047AF578
	v_max3_f32 v31, |v121|, |v123|, v31                        // 000000005544: D1D3031F 047EF779
	v_max3_f32 v30, |v124|, |v126|, v30                        // 00000000554C: D1D3031E 047AFD7C
	v_max3_f32 v31, |v125|, |v127|, v31                        // 000000005554: D1D3031F 047EFF7D
	v_rcp_f32_e32 v30, v30                                     // 00000000555C: 7E3C451E
	v_rcp_f32_e32 v31, v31                                     // 000000005560: 7E3E451F
	v_mov_b32_e32 v56, 0x43700000                              // 000000005564: 7E7002FF 43700000
	v_mul_f32_e32 v30, v56, v30                                // 00000000556C: 0A3C3D38
	v_mul_f32_e32 v31, v56, v31                                // 000000005570: 0A3E3F38
	v_mul_f32_e32 v144, v30, v144                              // 000000005574: 0B21211E
	v_mul_f32_e32 v145, v30, v145                              // 000000005578: 0B23231E
	v_mul_f32_e32 v146, v30, v146                              // 00000000557C: 0B25251E
	v_mul_f32_e32 v147, v30, v147                              // 000000005580: 0B27271E
	v_cvt_pk_fp8_f32 v132, v144, v145                          // 000000005584: D2A20084 00032390
	v_cvt_pk_fp8_f32 v132, v146, v147 op_sel:[0,0,1]           // 00000000558C: D2A24084 00032792
	v_mul_f32_e32 v148, v31, v148                              // 000000005594: 0B29291F
	v_mul_f32_e32 v149, v31, v149                              // 000000005598: 0B2B2B1F
	v_mul_f32_e32 v150, v31, v150                              // 00000000559C: 0B2D2D1F
	v_mul_f32_e32 v151, v31, v151                              // 0000000055A0: 0B2F2F1F
	v_cvt_pk_fp8_f32 v133, v148, v149                          // 0000000055A4: D2A20085 00032B94
	v_cvt_pk_fp8_f32 v133, v150, v151 op_sel:[0,0,1]           // 0000000055AC: D2A24085 00032F96
	v_mul_f32_e32 v152, v30, v152                              // 0000000055B4: 0B31311E
	v_mul_f32_e32 v153, v30, v153                              // 0000000055B8: 0B33331E
	v_mul_f32_e32 v154, v30, v154                              // 0000000055BC: 0B35351E
	v_mul_f32_e32 v155, v30, v155                              // 0000000055C0: 0B37371E
	v_cvt_pk_fp8_f32 v134, v152, v153                          // 0000000055C4: D2A20086 00033398
	v_cvt_pk_fp8_f32 v134, v154, v155 op_sel:[0,0,1]           // 0000000055CC: D2A24086 0003379A
	v_mul_f32_e32 v156, v31, v156                              // 0000000055D4: 0B39391F
	v_mul_f32_e32 v157, v31, v157                              // 0000000055D8: 0B3B3B1F
	v_mul_f32_e32 v158, v31, v158                              // 0000000055DC: 0B3D3D1F
	v_mul_f32_e32 v159, v31, v159                              // 0000000055E0: 0B3F3F1F
	v_cvt_pk_fp8_f32 v135, v156, v157                          // 0000000055E4: D2A20087 00033B9C
	v_cvt_pk_fp8_f32 v135, v158, v159 op_sel:[0,0,1]           // 0000000055EC: D2A24087 00033F9E
	v_rcp_f32_e32 v34, v30                                     // 0000000055F4: 7E44451E
	v_rcp_f32_e32 v35, v31                                     // 0000000055F8: 7E46451F
	v_lshrrev_b32_e32 v56, 5, v0                               // 0000000055FC: 20700085
	v_lshlrev_b32_e32 v57, 5, v56                              // 000000005600: 24727085
	v_and_b32_e32 v56, 31, v0                                  // 000000005604: 2670009F
	v_lshrrev_b32_e32 v58, 4, v56                              // 000000005608: 20747084
	v_add_u32_e32 v57, v58, v57                                // 00000000560C: 6872733A
	v_and_b32_e32 v56, 15, v0                                  // 000000005610: 2670008F
	v_lshlrev_b32_e32 v56, 1, v56                              // 000000005614: 24707081
	v_add_u32_e32 v57, v56, v57                                // 000000005618: 68727338
	v_lshlrev_b32_e32 v56, 2, v57                              // 00000000561C: 24707282
	s_mul_i32 s60, 0x100, s7                                   // 000000005620: 923C07FF 00000100
	v_add_u32_e64 v56, v56, s60                                // 000000005628: D1340038 00007938
	ds_write_b32 v56, v128 offset:20736                        // 000000005630: D81A5100 00008038
	ds_write_b32 v56, v129 offset:24832                        // 000000005638: D81A6100 00008138
	ds_write_b32 v56, v130 offset:21760                        // 000000005640: D81A5500 00008238
	ds_write_b32 v56, v131 offset:25856                        // 000000005648: D81A6500 00008338
	ds_write_b32 v56, v132 offset:22784                        // 000000005650: D81A5900 00008438
	ds_write_b32 v56, v133 offset:26880                        // 000000005658: D81A6900 00008538
	ds_write_b32 v56, v134 offset:23808                        // 000000005660: D81A5D00 00008638
	ds_write_b32 v56, v135 offset:27904                        // 000000005668: D81A6D00 00008738
	s_waitcnt lgkmcnt(0)                                       // 000000005670: BF8CC07F
	s_barrier                                                  // 000000005674: BF8A0000
	v_lshrrev_b32_e32 v56, 4, v0                               // 000000005678: 20700084
	v_lshlrev_b32_e32 v57, 6, v56                              // 00000000567C: 24727086
	v_and_b32_e32 v56, 15, v0                                  // 000000005680: 2670008F
	v_lshlrev_b32_e32 v56, 1, v56                              // 000000005684: 24707081
	v_add_u32_e32 v57, v56, v57                                // 000000005688: 68727338
	v_lshlrev_b32_e32 v56, 2, v57                              // 00000000568C: 24707282
	ds_read_b64 v[128:129], v56 offset:20736                   // 000000005690: D8EC5100 80000038
	ds_read_b64 v[130:131], v56 offset:20864                   // 000000005698: D8EC5180 82000038
	ds_read_b64 v[132:133], v56 offset:21760                   // 0000000056A0: D8EC5500 84000038
	ds_read_b64 v[134:135], v56 offset:21888                   // 0000000056A8: D8EC5580 86000038
	ds_read_b64 v[136:137], v56 offset:22784                   // 0000000056B0: D8EC5900 88000038
	ds_read_b64 v[138:139], v56 offset:22912                   // 0000000056B8: D8EC5980 8A000038
	ds_read_b64 v[140:141], v56 offset:23808                   // 0000000056C0: D8EC5D00 8C000038
	ds_read_b64 v[142:143], v56 offset:23936                   // 0000000056C8: D8EC5D80 8E000038
	ds_read_b64 v[144:145], v56 offset:24832                   // 0000000056D0: D8EC6100 90000038
	ds_read_b64 v[146:147], v56 offset:24960                   // 0000000056D8: D8EC6180 92000038
	ds_read_b64 v[148:149], v56 offset:25856                   // 0000000056E0: D8EC6500 94000038
	ds_read_b64 v[150:151], v56 offset:25984                   // 0000000056E8: D8EC6580 96000038
	ds_read_b64 v[152:153], v56 offset:26880                   // 0000000056F0: D8EC6900 98000038
	ds_read_b64 v[154:155], v56 offset:27008                   // 0000000056F8: D8EC6980 9A000038
	ds_read_b64 v[156:157], v56 offset:27904                   // 000000005700: D8EC6D00 9C000038
	ds_read_b64 v[158:159], v56 offset:28032                   // 000000005708: D8EC6D80 9E000038
	s_add_u32 s12, s56, s12                                    // 000000005710: 800C0C38
	s_addc_u32 s13, 0, s13                                     // 000000005714: 820D0D80
	s_add_u32 s16, s79, s16                                    // 000000005718: 8010104F
	s_addc_u32 s17, 0, s17                                     // 00000000571C: 82111180
	s_waitcnt lgkmcnt(0)                                       // 000000005720: BF8CC07F
	s_barrier                                                  // 000000005724: BF8A0000
	v_mov_b32_e32 v192, 0                                      // 000000005728: 7F800280
	v_mov_b32_e32 v224, 0                                      // 00000000572C: 7FC00280
	v_mov_b32_e32 v193, 0                                      // 000000005730: 7F820280
	v_mov_b32_e32 v225, 0                                      // 000000005734: 7FC20280
	v_mov_b32_e32 v194, 0                                      // 000000005738: 7F840280
	v_mov_b32_e32 v226, 0                                      // 00000000573C: 7FC40280
	v_mov_b32_e32 v195, 0                                      // 000000005740: 7F860280
	v_mov_b32_e32 v227, 0                                      // 000000005744: 7FC60280
	v_mov_b32_e32 v196, 0                                      // 000000005748: 7F880280
	v_mov_b32_e32 v228, 0                                      // 00000000574C: 7FC80280
	v_mov_b32_e32 v197, 0                                      // 000000005750: 7F8A0280
	v_mov_b32_e32 v229, 0                                      // 000000005754: 7FCA0280
	v_mov_b32_e32 v198, 0                                      // 000000005758: 7F8C0280
	v_mov_b32_e32 v230, 0                                      // 00000000575C: 7FCC0280
	v_mov_b32_e32 v199, 0                                      // 000000005760: 7F8E0280
	v_mov_b32_e32 v231, 0                                      // 000000005764: 7FCE0280
	v_mov_b32_e32 v200, 0                                      // 000000005768: 7F900280
	v_mov_b32_e32 v232, 0                                      // 00000000576C: 7FD00280
	v_mov_b32_e32 v201, 0                                      // 000000005770: 7F920280
	v_mov_b32_e32 v233, 0                                      // 000000005774: 7FD20280
	v_mov_b32_e32 v202, 0                                      // 000000005778: 7F940280
	v_mov_b32_e32 v234, 0                                      // 00000000577C: 7FD40280
	v_mov_b32_e32 v203, 0                                      // 000000005780: 7F960280
	v_mov_b32_e32 v235, 0                                      // 000000005784: 7FD60280
	v_mov_b32_e32 v204, 0                                      // 000000005788: 7F980280
	v_mov_b32_e32 v236, 0                                      // 00000000578C: 7FD80280
	v_mov_b32_e32 v205, 0                                      // 000000005790: 7F9A0280
	v_mov_b32_e32 v237, 0                                      // 000000005794: 7FDA0280
	v_mov_b32_e32 v206, 0                                      // 000000005798: 7F9C0280
	v_mov_b32_e32 v238, 0                                      // 00000000579C: 7FDC0280
	v_mov_b32_e32 v207, 0                                      // 0000000057A0: 7F9E0280
	v_mov_b32_e32 v239, 0                                      // 0000000057A4: 7FDE0280
	ds_write_b64 v4, v[192:193] offset:20736                   // 0000000057A8: D89A5100 0000C004
	ds_write_b64 v4, v[194:195] offset:29440                   // 0000000057B0: D89A7300 0000C204
	ds_write_b64 v4, v[196:197] offset:22912                   // 0000000057B8: D89A5980 0000C404
	ds_write_b64 v4, v[198:199] offset:31616                   // 0000000057C0: D89A7B80 0000C604
	ds_write_b64 v4, v[200:201] offset:25088                   // 0000000057C8: D89A6200 0000C804
	ds_write_b64 v4, v[202:203] offset:33792                   // 0000000057D0: D89A8400 0000CA04
	ds_write_b64 v4, v[204:205] offset:27264                   // 0000000057D8: D89A6A80 0000CC04
	ds_write_b64 v4, v[206:207] offset:35968                   // 0000000057E0: D89A8C80 0000CE04
	s_mov_b32 s80, 0                                           // 0000000057E8: BED00080
	s_waitcnt vmcnt(0) expcnt(0) lgkmcnt(0)                    // 0000000057EC: BF8C0000

00000000000057f0 <label_0A7C>:
	s_waitcnt vmcnt(28) lgkmcnt(0)                             // 0000000057F0: BF8C407C
	s_barrier                                                  // 0000000057F4: BF8A0000
	v_mfma_f32_16x16x32_fp8_fp8 v[192:195], a[0:1], v[128:129], 0// 0000000057F8: D3F300C0 0A030100
	ds_read_b32 v64, v5 offset:20736                           // 000000005800: D86C5100 40000005
	ds_read_b32 v65, v5 offset:25088                           // 000000005808: D86C6200 41000005
	v_mfma_f32_16x16x32_fp8_fp8 v[192:195], a[2:3], v[130:131], v[192:195]// 000000005810: D3F300C0 0F030502
	buffer_load_dwordx4 a[64:67], v48, s[12:15], 0 offen       // 000000005818: E05C1000 80834030
	v_mfma_f32_16x16x32_fp8_fp8 v[196:199], a[0:1], v[144:145], 0// 000000005820: D3F300C4 0A032100
	ds_read_b32 v66, v5 offset:20768                           // 000000005828: D86C5120 42000005
	ds_read_b32 v67, v5 offset:25120                           // 000000005830: D86C6220 43000005
	v_mfma_f32_16x16x32_fp8_fp8 v[196:199], a[2:3], v[146:147], v[196:199]// 000000005838: D3F300C4 0F132502
	buffer_load_dword v24, v6, s[16:19], 0 offen               // 000000005840: E0501000 80041806
	v_mfma_f32_16x16x32_fp8_fp8 v[200:203], a[4:5], v[128:129], 0// 000000005848: D3F300C8 0A030104
	ds_read_b32 v68, v5 offset:20800                           // 000000005850: D86C5140 44000005
	ds_read_b32 v69, v5 offset:25152                           // 000000005858: D86C6240 45000005
	v_mfma_f32_16x16x32_fp8_fp8 v[200:203], a[6:7], v[130:131], v[200:203]// 000000005860: D3F300C8 0F230506
	buffer_load_dwordx4 a[68:71], v49, s[12:15], 0 offen       // 000000005868: E05C1000 80834431
	v_mfma_f32_16x16x32_fp8_fp8 v[204:207], a[4:5], v[144:145], 0// 000000005870: D3F300CC 0A032104
	ds_read_b32 v70, v5 offset:20832                           // 000000005878: D86C5160 46000005
	ds_read_b32 v71, v5 offset:25184                           // 000000005880: D86C6260 47000005
	v_mfma_f32_16x16x32_fp8_fp8 v[204:207], a[6:7], v[146:147], v[204:207]// 000000005888: D3F300CC 0F332506
	v_mfma_f32_16x16x32_fp8_fp8 v[208:211], a[8:9], v[128:129], 0// 000000005890: D3F300D0 0A030108
	ds_read_b32 v72, v5 offset:29440                           // 000000005898: D86C7300 48000005
	ds_read_b32 v73, v5 offset:33792                           // 0000000058A0: D86C8400 49000005
	v_mfma_f32_16x16x32_fp8_fp8 v[208:211], a[10:11], v[130:131], v[208:211]// 0000000058A8: D3F300D0 0F43050A
	buffer_load_dwordx4 a[72:75], v50, s[12:15], 0 offen       // 0000000058B0: E05C1000 80834832
	v_mfma_f32_16x16x32_fp8_fp8 v[212:215], a[8:9], v[144:145], 0// 0000000058B8: D3F300D4 0A032108
	ds_read_b32 v74, v5 offset:29472                           // 0000000058C0: D86C7320 4A000005
	ds_read_b32 v75, v5 offset:33824                           // 0000000058C8: D86C8420 4B000005
	v_mfma_f32_16x16x32_fp8_fp8 v[212:215], a[10:11], v[146:147], v[212:215]// 0000000058D0: D3F300D4 0F53250A
	v_mfma_f32_16x16x32_fp8_fp8 v[216:219], a[12:13], v[128:129], 0// 0000000058D8: D3F300D8 0A03010C
	ds_read_b32 v76, v5 offset:29504                           // 0000000058E0: D86C7340 4C000005
	ds_read_b32 v77, v5 offset:33856                           // 0000000058E8: D86C8440 4D000005
	v_mfma_f32_16x16x32_fp8_fp8 v[216:219], a[14:15], v[130:131], v[216:219]// 0000000058F0: D3F300D8 0F63050E
	buffer_load_dwordx4 a[76:79], v51, s[12:15], 0 offen       // 0000000058F8: E05C1000 80834C33
	s_add_u32 s12, s78, s12                                    // 000000005900: 800C0C4E
	s_addc_u32 s13, 0, s13                                     // 000000005904: 820D0D80
	v_mfma_f32_16x16x32_fp8_fp8 v[220:223], a[12:13], v[144:145], 0// 000000005908: D3F300DC 0A03210C
	ds_read_b32 v78, v5 offset:29536                           // 000000005910: D86C7360 4E000005
	ds_read_b32 v79, v5 offset:33888                           // 000000005918: D86C8460 4F000005
	v_mfma_f32_16x16x32_fp8_fp8 v[220:223], a[14:15], v[146:147], v[220:223]// 000000005920: D3F300DC 0F73250E
	s_waitcnt vmcnt(29)                                        // 000000005928: BF8C4F7D
	v_mfma_f32_16x16x32_fp8_fp8 v[192:195], a[16:17], v[132:133], v[192:195]// 00000000592C: D3F300C0 0F030910
	v_mfma_f32_16x16x32_fp8_fp8 v[192:195], a[18:19], v[134:135], v[192:195]// 000000005934: D3F300C0 0F030D12
	buffer_load_dwordx4 a[80:83], v48, s[12:15], 0 offen       // 00000000593C: E05C1000 80835030
	v_mfma_f32_16x16x32_fp8_fp8 v[196:199], a[16:17], v[148:149], v[196:199]// 000000005944: D3F300C4 0F132910
	v_mfma_f32_16x16x32_fp8_fp8 v[196:199], a[18:19], v[150:151], v[196:199]// 00000000594C: D3F300C4 0F132D12
	v_mfma_f32_16x16x32_fp8_fp8 v[200:203], a[20:21], v[132:133], v[200:203]// 000000005954: D3F300C8 0F230914
	v_mfma_f32_16x16x32_fp8_fp8 v[200:203], a[22:23], v[134:135], v[200:203]// 00000000595C: D3F300C8 0F230D16
	buffer_load_dwordx4 a[84:87], v49, s[12:15], 0 offen       // 000000005964: E05C1000 80835431
	v_mfma_f32_16x16x32_fp8_fp8 v[204:207], a[20:21], v[148:149], v[204:207]// 00000000596C: D3F300CC 0F332914
	v_mfma_f32_16x16x32_fp8_fp8 v[204:207], a[22:23], v[150:151], v[204:207]// 000000005974: D3F300CC 0F332D16
	v_mfma_f32_16x16x32_fp8_fp8 v[208:211], a[24:25], v[132:133], v[208:211]// 00000000597C: D3F300D0 0F430918
	v_mfma_f32_16x16x32_fp8_fp8 v[208:211], a[26:27], v[134:135], v[208:211]// 000000005984: D3F300D0 0F430D1A
	buffer_load_dwordx4 a[88:91], v50, s[12:15], 0 offen       // 00000000598C: E05C1000 80835832
	v_mfma_f32_16x16x32_fp8_fp8 v[212:215], a[24:25], v[148:149], v[212:215]// 000000005994: D3F300D4 0F532918
	v_mfma_f32_16x16x32_fp8_fp8 v[212:215], a[26:27], v[150:151], v[212:215]// 00000000599C: D3F300D4 0F532D1A
	v_mfma_f32_16x16x32_fp8_fp8 v[216:219], a[28:29], v[132:133], v[216:219]// 0000000059A4: D3F300D8 0F63091C
	v_mfma_f32_16x16x32_fp8_fp8 v[216:219], a[30:31], v[134:135], v[216:219]// 0000000059AC: D3F300D8 0F630D1E
	buffer_load_dwordx4 a[92:95], v51, s[12:15], 0 offen       // 0000000059B4: E05C1000 80835C33
	s_add_u32 s12, s78, s12                                    // 0000000059BC: 800C0C4E
	s_addc_u32 s13, 0, s13                                     // 0000000059C0: 820D0D80
	v_mfma_f32_16x16x32_fp8_fp8 v[220:223], a[28:29], v[148:149], v[220:223]// 0000000059C4: D3F300DC 0F73291C
	v_mfma_f32_16x16x32_fp8_fp8 v[220:223], a[30:31], v[150:151], v[220:223]// 0000000059CC: D3F300DC 0F732D1E
	v_mul_f32_dpp v56, v23, v32 row_newbcast:0 row_mask:0xf bank_mask:0xf// 0000000059D4: 0A7040FA FF015017
	v_mov_b32_e32 v57, v56                                     // 0000000059DC: 7E720338
	v_pk_mul_f32 v[192:193], v[56:57], v[192:193]              // 0000000059E0: D3B140C0 18038138
	v_pk_mul_f32 v[194:195], v[56:57], v[194:195]              // 0000000059E8: D3B140C2 18038538
	v_pk_mul_f32 v[200:201], v[56:57], v[200:201]              // 0000000059F0: D3B140C8 18039138
	v_pk_mul_f32 v[202:203], v[56:57], v[202:203]              // 0000000059F8: D3B140CA 18039538
	v_mul_f32_dpp v56, v23, v32 row_newbcast:1 row_mask:0xf bank_mask:0xf// 000000005A00: 0A7040FA FF015117
	v_mov_b32_e32 v57, v56                                     // 000000005A08: 7E720338
	v_pk_mul_f32 v[208:209], v[56:57], v[208:209]              // 000000005A0C: D3B140D0 1803A138
	v_pk_mul_f32 v[210:211], v[56:57], v[210:211]              // 000000005A14: D3B140D2 1803A538
	v_pk_mul_f32 v[216:217], v[56:57], v[216:217]              // 000000005A1C: D3B140D8 1803B138
	v_pk_mul_f32 v[218:219], v[56:57], v[218:219]              // 000000005A24: D3B140DA 1803B538
	v_mul_f32_dpp v56, v23, v33 row_newbcast:0 row_mask:0xf bank_mask:0xf// 000000005A2C: 0A7042FA FF015017
	v_mov_b32_e32 v57, v56                                     // 000000005A34: 7E720338
	v_pk_mul_f32 v[196:197], v[56:57], v[196:197]              // 000000005A38: D3B140C4 18038938
	v_pk_mul_f32 v[198:199], v[56:57], v[198:199]              // 000000005A40: D3B140C6 18038D38
	v_pk_mul_f32 v[204:205], v[56:57], v[204:205]              // 000000005A48: D3B140CC 18039938
	v_pk_mul_f32 v[206:207], v[56:57], v[206:207]              // 000000005A50: D3B140CE 18039D38
	v_mul_f32_dpp v56, v23, v33 row_newbcast:1 row_mask:0xf bank_mask:0xf// 000000005A58: 0A7042FA FF015117
	v_mov_b32_e32 v57, v56                                     // 000000005A60: 7E720338
	v_pk_mul_f32 v[212:213], v[56:57], v[212:213]              // 000000005A64: D3B140D4 1803A938
	v_pk_mul_f32 v[214:215], v[56:57], v[214:215]              // 000000005A6C: D3B140D6 1803AD38
	v_pk_mul_f32 v[220:221], v[56:57], v[220:221]              // 000000005A74: D3B140DC 1803B938
	v_pk_mul_f32 v[222:223], v[56:57], v[222:223]              // 000000005A7C: D3B140DE 1803BD38
	s_waitcnt vmcnt(29)                                        // 000000005A84: BF8C4F7D
	v_mfma_f32_16x16x32_fp8_fp8 v[160:163], a[32:33], v[136:137], 0// 000000005A88: D3F300A0 0A031120
	ds_write_b64 v4, v[224:225] offset:38144                   // 000000005A90: D89A9500 0000E004
	v_mfma_f32_16x16x32_fp8_fp8 v[160:163], a[34:35], v[138:139], v[160:163]// 000000005A98: D3F300A0 0E831522
	buffer_load_dwordx4 a[96:99], v48, s[12:15], 0 offen       // 000000005AA0: E05C1000 80836030
	v_mfma_f32_16x16x32_fp8_fp8 v[164:167], a[32:33], v[152:153], 0// 000000005AA8: D3F300A4 0A033120
	ds_write_b64 v4, v[226:227] offset:46848                   // 000000005AB0: D89AB700 0000E204
	v_mfma_f32_16x16x32_fp8_fp8 v[164:167], a[34:35], v[154:155], v[164:167]// 000000005AB8: D3F300A4 0E933522
	v_mfma_f32_16x16x32_fp8_fp8 v[168:171], a[36:37], v[136:137], 0// 000000005AC0: D3F300A8 0A031124
	ds_write_b64 v4, v[228:229] offset:40320                   // 000000005AC8: D89A9D80 0000E404
	v_mfma_f32_16x16x32_fp8_fp8 v[168:171], a[38:39], v[138:139], v[168:171]// 000000005AD0: D3F300A8 0EA31526
	buffer_load_dwordx4 a[100:103], v49, s[12:15], 0 offen     // 000000005AD8: E05C1000 80836431
	v_mfma_f32_16x16x32_fp8_fp8 v[172:175], a[36:37], v[152:153], 0// 000000005AE0: D3F300AC 0A033124
	ds_write_b64 v4, v[230:231] offset:49024                   // 000000005AE8: D89ABF80 0000E604
	v_mfma_f32_16x16x32_fp8_fp8 v[172:175], a[38:39], v[154:155], v[172:175]// 000000005AF0: D3F300AC 0EB33526
	v_mfma_f32_16x16x32_fp8_fp8 v[176:179], a[40:41], v[136:137], 0// 000000005AF8: D3F300B0 0A031128
	ds_write_b64 v4, v[232:233] offset:42496                   // 000000005B00: D89AA600 0000E804
	v_mfma_f32_16x16x32_fp8_fp8 v[176:179], a[42:43], v[138:139], v[176:179]// 000000005B08: D3F300B0 0EC3152A
	buffer_load_dwordx4 a[104:107], v50, s[12:15], 0 offen     // 000000005B10: E05C1000 80836832
	v_mfma_f32_16x16x32_fp8_fp8 v[180:183], a[40:41], v[152:153], 0// 000000005B18: D3F300B4 0A033128
	ds_write_b64 v4, v[234:235] offset:51200                   // 000000005B20: D89AC800 0000EA04
	v_mfma_f32_16x16x32_fp8_fp8 v[180:183], a[42:43], v[154:155], v[180:183]// 000000005B28: D3F300B4 0ED3352A
	v_mfma_f32_16x16x32_fp8_fp8 v[184:187], a[44:45], v[136:137], 0// 000000005B30: D3F300B8 0A03112C
	ds_write_b64 v4, v[236:237] offset:44672                   // 000000005B38: D89AAE80 0000EC04
	v_mfma_f32_16x16x32_fp8_fp8 v[184:187], a[46:47], v[138:139], v[184:187]// 000000005B40: D3F300B8 0EE3152E
	buffer_load_dwordx4 a[108:111], v51, s[12:15], 0 offen     // 000000005B48: E05C1000 80836C33
	s_add_u32 s12, s78, s12                                    // 000000005B50: 800C0C4E
	s_addc_u32 s13, 0, s13                                     // 000000005B54: 820D0D80
	v_mfma_f32_16x16x32_fp8_fp8 v[188:191], a[44:45], v[152:153], 0// 000000005B58: D3F300BC 0A03312C
	ds_write_b64 v4, v[238:239] offset:53376                   // 000000005B60: D89AD080 0000EE04
	v_mfma_f32_16x16x32_fp8_fp8 v[188:191], a[46:47], v[154:155], v[188:191]// 000000005B68: D3F300BC 0EF3352E
	s_waitcnt vmcnt(29)                                        // 000000005B70: BF8C4F7D
	v_mfma_f32_16x16x32_fp8_fp8 v[160:163], a[48:49], v[140:141], v[160:163]// 000000005B74: D3F300A0 0E831930
	v_mfma_f32_16x16x32_fp8_fp8 v[160:163], a[50:51], v[142:143], v[160:163]// 000000005B7C: D3F300A0 0E831D32
	buffer_load_dwordx4 a[112:115], v48, s[12:15], 0 offen     // 000000005B84: E05C1000 80837030
	v_mfma_f32_16x16x32_fp8_fp8 v[164:167], a[48:49], v[156:157], v[164:167]// 000000005B8C: D3F300A4 0E933930
	v_mfma_f32_16x16x32_fp8_fp8 v[164:167], a[50:51], v[158:159], v[164:167]// 000000005B94: D3F300A4 0E933D32
	v_mfma_f32_16x16x32_fp8_fp8 v[168:171], a[52:53], v[140:141], v[168:171]// 000000005B9C: D3F300A8 0EA31934
	v_mfma_f32_16x16x32_fp8_fp8 v[168:171], a[54:55], v[142:143], v[168:171]// 000000005BA4: D3F300A8 0EA31D36
	buffer_load_dwordx4 a[116:119], v49, s[12:15], 0 offen     // 000000005BAC: E05C1000 80837431
	v_mfma_f32_16x16x32_fp8_fp8 v[172:175], a[52:53], v[156:157], v[172:175]// 000000005BB4: D3F300AC 0EB33934
	v_mfma_f32_16x16x32_fp8_fp8 v[172:175], a[54:55], v[158:159], v[172:175]// 000000005BBC: D3F300AC 0EB33D36
	v_mfma_f32_16x16x32_fp8_fp8 v[176:179], a[56:57], v[140:141], v[176:179]// 000000005BC4: D3F300B0 0EC31938
	v_mfma_f32_16x16x32_fp8_fp8 v[176:179], a[58:59], v[142:143], v[176:179]// 000000005BCC: D3F300B0 0EC31D3A
	buffer_load_dwordx4 a[120:123], v50, s[12:15], 0 offen     // 000000005BD4: E05C1000 80837832
	v_mfma_f32_16x16x32_fp8_fp8 v[180:183], a[56:57], v[156:157], v[180:183]// 000000005BDC: D3F300B4 0ED33938
	v_mfma_f32_16x16x32_fp8_fp8 v[180:183], a[58:59], v[158:159], v[180:183]// 000000005BE4: D3F300B4 0ED33D3A
	v_mfma_f32_16x16x32_fp8_fp8 v[184:187], a[60:61], v[140:141], v[184:187]// 000000005BEC: D3F300B8 0EE3193C
	v_mfma_f32_16x16x32_fp8_fp8 v[184:187], a[62:63], v[142:143], v[184:187]// 000000005BF4: D3F300B8 0EE31D3E
	buffer_load_dwordx4 a[124:127], v51, s[12:15], 0 offen     // 000000005BFC: E05C1000 80837C33
	v_mfma_f32_16x16x32_fp8_fp8 v[188:191], a[60:61], v[156:157], v[188:191]// 000000005C04: D3F300BC 0EF3393C
	v_mfma_f32_16x16x32_fp8_fp8 v[188:191], a[62:63], v[158:159], v[188:191]// 000000005C0C: D3F300BC 0EF33D3E
	v_mul_f32_dpp v56, v23, v34 row_newbcast:2 row_mask:0xf bank_mask:0xf// 000000005C14: 0A7044FA FF015217
	v_mov_b32_e32 v57, v56                                     // 000000005C1C: 7E720338
	v_pk_fma_f32 v[192:193], v[160:161], v[56:57], v[192:193]  // 000000005C20: D3B040C0 1F0271A0
	v_pk_fma_f32 v[194:195], v[162:163], v[56:57], v[194:195]  // 000000005C28: D3B040C2 1F0A71A2
	v_pk_fma_f32 v[200:201], v[168:169], v[56:57], v[200:201]  // 000000005C30: D3B040C8 1F2271A8
	v_pk_fma_f32 v[202:203], v[170:171], v[56:57], v[202:203]  // 000000005C38: D3B040CA 1F2A71AA
	v_mul_f32_dpp v56, v23, v34 row_newbcast:3 row_mask:0xf bank_mask:0xf// 000000005C40: 0A7044FA FF015317
	v_mov_b32_e32 v57, v56                                     // 000000005C48: 7E720338
	v_pk_fma_f32 v[208:209], v[176:177], v[56:57], v[208:209]  // 000000005C4C: D3B040D0 1F4271B0
	v_pk_fma_f32 v[210:211], v[178:179], v[56:57], v[210:211]  // 000000005C54: D3B040D2 1F4A71B2
	v_pk_fma_f32 v[216:217], v[184:185], v[56:57], v[216:217]  // 000000005C5C: D3B040D8 1F6271B8
	v_pk_fma_f32 v[218:219], v[186:187], v[56:57], v[218:219]  // 000000005C64: D3B040DA 1F6A71BA
	v_mul_f32_dpp v56, v23, v35 row_newbcast:2 row_mask:0xf bank_mask:0xf// 000000005C6C: 0A7046FA FF015217
	v_mov_b32_e32 v57, v56                                     // 000000005C74: 7E720338
	v_pk_fma_f32 v[196:197], v[164:165], v[56:57], v[196:197]  // 000000005C78: D3B040C4 1F1271A4
	v_pk_fma_f32 v[198:199], v[166:167], v[56:57], v[198:199]  // 000000005C80: D3B040C6 1F1A71A6
	v_pk_fma_f32 v[204:205], v[172:173], v[56:57], v[204:205]  // 000000005C88: D3B040CC 1F3271AC
	v_pk_fma_f32 v[206:207], v[174:175], v[56:57], v[206:207]  // 000000005C90: D3B040CE 1F3A71AE
	v_mul_f32_dpp v56, v23, v35 row_newbcast:3 row_mask:0xf bank_mask:0xf// 000000005C98: 0A7046FA FF015317
	v_mov_b32_e32 v57, v56                                     // 000000005CA0: 7E720338
	v_pk_fma_f32 v[212:213], v[180:181], v[56:57], v[212:213]  // 000000005CA4: D3B040D4 1F5271B4
	v_pk_fma_f32 v[214:215], v[182:183], v[56:57], v[214:215]  // 000000005CAC: D3B040D6 1F5A71B6
	v_pk_fma_f32 v[220:221], v[188:189], v[56:57], v[220:221]  // 000000005CB4: D3B040DC 1F7271BC
	v_pk_fma_f32 v[222:223], v[190:191], v[56:57], v[222:223]  // 000000005CBC: D3B040DE 1F7A71BE
	s_add_u32 s60, 0x200, s80                                  // 000000005CC4: 803C50FF 00000200
	s_cmp_lt_u32 s60, s81                                      // 000000005CCC: BF0A513C
	s_cselect_b32 s56, s56, 0                                  // 000000005CD0: 85388038
	s_cselect_b32 s78, s78, 0                                  // 000000005CD4: 854E804E
	s_cselect_b32 s79, s79, 0                                  // 000000005CD8: 854F804F
	s_add_u32 s12, s56, s12                                    // 000000005CDC: 800C0C38
	s_addc_u32 s13, 0, s13                                     // 000000005CE0: 820D0D80
	s_add_u32 s16, s79, s16                                    // 000000005CE4: 8010104F
	s_addc_u32 s17, 0, s17                                     // 000000005CE8: 82111180
	v_mov_b32_e32 v56, v25                                     // 000000005CEC: 7E700319
	v_mov_b32_e32 v57, v25                                     // 000000005CF0: 7E720319
	v_pk_mul_f32 v[192:193], v[56:57], v[192:193]              // 000000005CF4: D3B140C0 18038138
	v_pk_mul_f32 v[194:195], v[56:57], v[194:195]              // 000000005CFC: D3B140C2 18038538
	v_pk_mul_f32 v[200:201], v[56:57], v[200:201]              // 000000005D04: D3B140C8 18039138
	v_pk_mul_f32 v[202:203], v[56:57], v[202:203]              // 000000005D0C: D3B140CA 18039538
	v_pk_mul_f32 v[208:209], v[56:57], v[208:209]              // 000000005D14: D3B140D0 1803A138
	v_pk_mul_f32 v[210:211], v[56:57], v[210:211]              // 000000005D1C: D3B140D2 1803A538
	v_pk_mul_f32 v[216:217], v[56:57], v[216:217]              // 000000005D24: D3B140D8 1803B138
	v_pk_mul_f32 v[218:219], v[56:57], v[218:219]              // 000000005D2C: D3B140DA 1803B538
	v_mov_b32_e32 v56, v26                                     // 000000005D34: 7E70031A
	v_mov_b32_e32 v57, v26                                     // 000000005D38: 7E72031A
	v_pk_mul_f32 v[196:197], v[56:57], v[196:197]              // 000000005D3C: D3B140C4 18038938
	v_pk_mul_f32 v[198:199], v[56:57], v[198:199]              // 000000005D44: D3B140C6 18038D38
	v_pk_mul_f32 v[204:205], v[56:57], v[204:205]              // 000000005D4C: D3B140CC 18039938
	v_pk_mul_f32 v[206:207], v[56:57], v[206:207]              // 000000005D54: D3B140CE 18039D38
	v_pk_mul_f32 v[212:213], v[56:57], v[212:213]              // 000000005D5C: D3B140D4 1803A938
	v_pk_mul_f32 v[214:215], v[56:57], v[214:215]              // 000000005D64: D3B140D6 1803AD38
	v_pk_mul_f32 v[220:221], v[56:57], v[220:221]              // 000000005D6C: D3B140DC 1803B938
	v_pk_mul_f32 v[222:223], v[56:57], v[222:223]              // 000000005D74: D3B140DE 1803BD38
	v_cvt_pkrtz_f16_f32 v192, v192, v193                       // 000000005D7C: D29600C0 000383C0
	v_cvt_pkrtz_f16_f32 v193, v194, v195                       // 000000005D84: D29600C1 000387C2
	v_cvt_pkrtz_f16_f32 v194, v196, v197                       // 000000005D8C: D29600C2 00038BC4
	v_cvt_pkrtz_f16_f32 v195, v198, v199                       // 000000005D94: D29600C3 00038FC6
	v_cvt_pkrtz_f16_f32 v196, v200, v201                       // 000000005D9C: D29600C4 000393C8
	v_cvt_pkrtz_f16_f32 v197, v202, v203                       // 000000005DA4: D29600C5 000397CA
	v_cvt_pkrtz_f16_f32 v198, v204, v205                       // 000000005DAC: D29600C6 00039BCC
	v_cvt_pkrtz_f16_f32 v199, v206, v207                       // 000000005DB4: D29600C7 00039FCE
	v_cvt_pkrtz_f16_f32 v200, v208, v209                       // 000000005DBC: D29600C8 0003A3D0
	v_cvt_pkrtz_f16_f32 v201, v210, v211                       // 000000005DC4: D29600C9 0003A7D2
	v_cvt_pkrtz_f16_f32 v202, v212, v213                       // 000000005DCC: D29600CA 0003ABD4
	v_cvt_pkrtz_f16_f32 v203, v214, v215                       // 000000005DD4: D29600CB 0003AFD6
	v_cvt_pkrtz_f16_f32 v204, v216, v217                       // 000000005DDC: D29600CC 0003B3D8
	v_cvt_pkrtz_f16_f32 v205, v218, v219                       // 000000005DE4: D29600CD 0003B7DA
	v_cvt_pkrtz_f16_f32 v206, v220, v221                       // 000000005DEC: D29600CE 0003BBDC
	v_cvt_pkrtz_f16_f32 v207, v222, v223                       // 000000005DF4: D29600CF 0003BFDE
	s_cmp_ge_u32 s80, 0x200                                    // 000000005DFC: BF09FF50 00000200
	s_cselect_b32 s59, 0x200, s59                              // 000000005E04: 853B3BFF 00000200
	s_mov_b64 exec, s[20:21]                                   // 000000005E0C: BEFE0114
	global_atomic_pk_add_f16 v80, v64, s[8:9]                  // 000000005E10: DD388000 00084050
	s_mov_b64 exec, s[36:37]                                   // 000000005E18: BEFE0124
	s_mov_b64 exec, s[20:21]                                   // 000000005E1C: BEFE0114
	global_atomic_pk_add_f16 v80, v65, s[8:9] offset:256       // 000000005E20: DD388100 00084150
	s_mov_b64 exec, s[36:37]                                   // 000000005E28: BEFE0124
	s_mov_b64 exec, s[22:23]                                   // 000000005E2C: BEFE0116
	global_atomic_pk_add_f16 v82, v66, s[8:9]                  // 000000005E30: DD388000 00084252
	s_mov_b64 exec, s[36:37]                                   // 000000005E38: BEFE0124
	s_mov_b64 exec, s[22:23]                                   // 000000005E3C: BEFE0116
	global_atomic_pk_add_f16 v82, v67, s[8:9] offset:256       // 000000005E40: DD388100 00084352
	s_mov_b64 exec, s[36:37]                                   // 000000005E48: BEFE0124
	s_mov_b64 exec, s[24:25]                                   // 000000005E4C: BEFE0118
	global_atomic_pk_add_f16 v84, v68, s[8:9]                  // 000000005E50: DD388000 00084454
	s_mov_b64 exec, s[36:37]                                   // 000000005E58: BEFE0124
	s_mov_b64 exec, s[24:25]                                   // 000000005E5C: BEFE0118
	global_atomic_pk_add_f16 v84, v69, s[8:9] offset:256       // 000000005E60: DD388100 00084554
	s_mov_b64 exec, s[36:37]                                   // 000000005E68: BEFE0124
	s_mov_b64 exec, s[26:27]                                   // 000000005E6C: BEFE011A
	global_atomic_pk_add_f16 v86, v70, s[8:9]                  // 000000005E70: DD388000 00084656
	s_mov_b64 exec, s[36:37]                                   // 000000005E78: BEFE0124
	s_mov_b64 exec, s[26:27]                                   // 000000005E7C: BEFE011A
	global_atomic_pk_add_f16 v86, v71, s[8:9] offset:256       // 000000005E80: DD388100 00084756
	s_mov_b64 exec, s[36:37]                                   // 000000005E88: BEFE0124
	s_mov_b64 exec, s[28:29]                                   // 000000005E8C: BEFE011C
	global_atomic_pk_add_f16 v88, v72, s[8:9]                  // 000000005E90: DD388000 00084858
	s_mov_b64 exec, s[36:37]                                   // 000000005E98: BEFE0124
	s_mov_b64 exec, s[28:29]                                   // 000000005E9C: BEFE011C
	global_atomic_pk_add_f16 v88, v73, s[8:9] offset:256       // 000000005EA0: DD388100 00084958
	s_mov_b64 exec, s[36:37]                                   // 000000005EA8: BEFE0124
	s_mov_b64 exec, s[30:31]                                   // 000000005EAC: BEFE011E
	global_atomic_pk_add_f16 v90, v74, s[8:9]                  // 000000005EB0: DD388000 00084A5A
	s_mov_b64 exec, s[36:37]                                   // 000000005EB8: BEFE0124
	s_mov_b64 exec, s[30:31]                                   // 000000005EBC: BEFE011E
	global_atomic_pk_add_f16 v90, v75, s[8:9] offset:256       // 000000005EC0: DD388100 00084B5A
	s_mov_b64 exec, s[36:37]                                   // 000000005EC8: BEFE0124
	s_mov_b64 exec, s[32:33]                                   // 000000005ECC: BEFE0120
	global_atomic_pk_add_f16 v92, v76, s[8:9]                  // 000000005ED0: DD388000 00084C5C
	s_mov_b64 exec, s[36:37]                                   // 000000005ED8: BEFE0124
	s_mov_b64 exec, s[32:33]                                   // 000000005EDC: BEFE0120
	global_atomic_pk_add_f16 v92, v77, s[8:9] offset:256       // 000000005EE0: DD388100 00084D5C
	s_mov_b64 exec, s[36:37]                                   // 000000005EE8: BEFE0124
	s_mov_b64 exec, s[34:35]                                   // 000000005EEC: BEFE0122
	global_atomic_pk_add_f16 v94, v78, s[8:9]                  // 000000005EF0: DD388000 00084E5E
	s_mov_b64 exec, s[36:37]                                   // 000000005EF8: BEFE0124
	s_mov_b64 exec, s[34:35]                                   // 000000005EFC: BEFE0122
	global_atomic_pk_add_f16 v94, v79, s[8:9] offset:256       // 000000005F00: DD388100 00084F5E
	s_mov_b64 exec, s[36:37]                                   // 000000005F08: BEFE0124
	s_add_u32 s8, s59, s8                                      // 000000005F0C: 8008083B
	s_addc_u32 s9, 0, s9                                       // 000000005F10: 82090980
	s_addk_i32 s80, 0x100                                      // 000000005F14: B7500100
	s_cmp_lt_i32 s80, s81                                      // 000000005F18: BF045150
	s_cbranch_scc0 label_0E15                                  // 000000005F1C: BF8401CD
	s_waitcnt vmcnt(28) lgkmcnt(0)                             // 000000005F20: BF8C407C
	s_barrier                                                  // 000000005F24: BF8A0000
	v_mfma_f32_16x16x32_fp8_fp8 v[224:227], a[64:65], v[128:129], 0// 000000005F28: D3F300E0 0A030140
	ds_read_b32 v64, v5 offset:38144                           // 000000005F30: D86C9500 40000005
	ds_read_b32 v65, v5 offset:42496                           // 000000005F38: D86CA600 41000005
	v_mfma_f32_16x16x32_fp8_fp8 v[224:227], a[66:67], v[130:131], v[224:227]// 000000005F40: D3F300E0 0F830542
	buffer_load_dwordx4 a[0:3], v48, s[12:15], 0 offen         // 000000005F48: E05C1000 80830030
	v_mfma_f32_16x16x32_fp8_fp8 v[228:231], a[64:65], v[144:145], 0// 000000005F50: D3F300E4 0A032140
	ds_read_b32 v66, v5 offset:38176                           // 000000005F58: D86C9520 42000005
	ds_read_b32 v67, v5 offset:42528                           // 000000005F60: D86CA620 43000005
	v_mfma_f32_16x16x32_fp8_fp8 v[228:231], a[66:67], v[146:147], v[228:231]// 000000005F68: D3F300E4 0F932542
	buffer_load_dword v23, v6, s[16:19], 0 offen               // 000000005F70: E0501000 80041706
	v_mfma_f32_16x16x32_fp8_fp8 v[232:235], a[68:69], v[128:129], 0// 000000005F78: D3F300E8 0A030144
	ds_read_b32 v68, v5 offset:38208                           // 000000005F80: D86C9540 44000005
	ds_read_b32 v69, v5 offset:42560                           // 000000005F88: D86CA640 45000005
	v_mfma_f32_16x16x32_fp8_fp8 v[232:235], a[70:71], v[130:131], v[232:235]// 000000005F90: D3F300E8 0FA30546
	buffer_load_dwordx4 a[4:7], v49, s[12:15], 0 offen         // 000000005F98: E05C1000 80830431
	v_mfma_f32_16x16x32_fp8_fp8 v[236:239], a[68:69], v[144:145], 0// 000000005FA0: D3F300EC 0A032144
	ds_read_b32 v70, v5 offset:38240                           // 000000005FA8: D86C9560 46000005
	ds_read_b32 v71, v5 offset:42592                           // 000000005FB0: D86CA660 47000005
	v_mfma_f32_16x16x32_fp8_fp8 v[236:239], a[70:71], v[146:147], v[236:239]// 000000005FB8: D3F300EC 0FB32546
	v_mfma_f32_16x16x32_fp8_fp8 v[240:243], a[72:73], v[128:129], 0// 000000005FC0: D3F300F0 0A030148
	ds_read_b32 v72, v5 offset:46848                           // 000000005FC8: D86CB700 48000005
	ds_read_b32 v73, v5 offset:51200                           // 000000005FD0: D86CC800 49000005
	v_mfma_f32_16x16x32_fp8_fp8 v[240:243], a[74:75], v[130:131], v[240:243]// 000000005FD8: D3F300F0 0FC3054A
	buffer_load_dwordx4 a[8:11], v50, s[12:15], 0 offen        // 000000005FE0: E05C1000 80830832
	v_mfma_f32_16x16x32_fp8_fp8 v[244:247], a[72:73], v[144:145], 0// 000000005FE8: D3F300F4 0A032148
	ds_read_b32 v74, v5 offset:46880                           // 000000005FF0: D86CB720 4A000005
	ds_read_b32 v75, v5 offset:51232                           // 000000005FF8: D86CC820 4B000005
	v_mfma_f32_16x16x32_fp8_fp8 v[244:247], a[74:75], v[146:147], v[244:247]// 000000006000: D3F300F4 0FD3254A
	v_mfma_f32_16x16x32_fp8_fp8 v[248:251], a[76:77], v[128:129], 0// 000000006008: D3F300F8 0A03014C
	ds_read_b32 v76, v5 offset:46912                           // 000000006010: D86CB740 4C000005
	ds_read_b32 v77, v5 offset:51264                           // 000000006018: D86CC840 4D000005
	v_mfma_f32_16x16x32_fp8_fp8 v[248:251], a[78:79], v[130:131], v[248:251]// 000000006020: D3F300F8 0FE3054E
	buffer_load_dwordx4 a[12:15], v51, s[12:15], 0 offen       // 000000006028: E05C1000 80830C33
	s_add_u32 s12, s78, s12                                    // 000000006030: 800C0C4E
	s_addc_u32 s13, 0, s13                                     // 000000006034: 820D0D80
	v_mfma_f32_16x16x32_fp8_fp8 v[252:255], a[76:77], v[144:145], 0// 000000006038: D3F300FC 0A03214C
	ds_read_b32 v78, v5 offset:46944                           // 000000006040: D86CB760 4E000005
	ds_read_b32 v79, v5 offset:51296                           // 000000006048: D86CC860 4F000005
	v_mfma_f32_16x16x32_fp8_fp8 v[252:255], a[78:79], v[146:147], v[252:255]// 000000006050: D3F300FC 0FF3254E
	s_waitcnt vmcnt(29)                                        // 000000006058: BF8C4F7D
	v_mfma_f32_16x16x32_fp8_fp8 v[224:227], a[80:81], v[132:133], v[224:227]// 00000000605C: D3F300E0 0F830950
	v_mfma_f32_16x16x32_fp8_fp8 v[224:227], a[82:83], v[134:135], v[224:227]// 000000006064: D3F300E0 0F830D52
	buffer_load_dwordx4 a[16:19], v48, s[12:15], 0 offen       // 00000000606C: E05C1000 80831030
	v_mfma_f32_16x16x32_fp8_fp8 v[228:231], a[80:81], v[148:149], v[228:231]// 000000006074: D3F300E4 0F932950
	v_mfma_f32_16x16x32_fp8_fp8 v[228:231], a[82:83], v[150:151], v[228:231]// 00000000607C: D3F300E4 0F932D52
	v_mfma_f32_16x16x32_fp8_fp8 v[232:235], a[84:85], v[132:133], v[232:235]// 000000006084: D3F300E8 0FA30954
	v_mfma_f32_16x16x32_fp8_fp8 v[232:235], a[86:87], v[134:135], v[232:235]// 00000000608C: D3F300E8 0FA30D56
	buffer_load_dwordx4 a[20:23], v49, s[12:15], 0 offen       // 000000006094: E05C1000 80831431
	v_mfma_f32_16x16x32_fp8_fp8 v[236:239], a[84:85], v[148:149], v[236:239]// 00000000609C: D3F300EC 0FB32954
	v_mfma_f32_16x16x32_fp8_fp8 v[236:239], a[86:87], v[150:151], v[236:239]// 0000000060A4: D3F300EC 0FB32D56
	v_mfma_f32_16x16x32_fp8_fp8 v[240:243], a[88:89], v[132:133], v[240:243]// 0000000060AC: D3F300F0 0FC30958
	v_mfma_f32_16x16x32_fp8_fp8 v[240:243], a[90:91], v[134:135], v[240:243]// 0000000060B4: D3F300F0 0FC30D5A
	buffer_load_dwordx4 a[24:27], v50, s[12:15], 0 offen       // 0000000060BC: E05C1000 80831832
	v_mfma_f32_16x16x32_fp8_fp8 v[244:247], a[88:89], v[148:149], v[244:247]// 0000000060C4: D3F300F4 0FD32958
	v_mfma_f32_16x16x32_fp8_fp8 v[244:247], a[90:91], v[150:151], v[244:247]// 0000000060CC: D3F300F4 0FD32D5A
	v_mfma_f32_16x16x32_fp8_fp8 v[248:251], a[92:93], v[132:133], v[248:251]// 0000000060D4: D3F300F8 0FE3095C
	v_mfma_f32_16x16x32_fp8_fp8 v[248:251], a[94:95], v[134:135], v[248:251]// 0000000060DC: D3F300F8 0FE30D5E
	buffer_load_dwordx4 a[28:31], v51, s[12:15], 0 offen       // 0000000060E4: E05C1000 80831C33
	s_add_u32 s12, s78, s12                                    // 0000000060EC: 800C0C4E
	s_addc_u32 s13, 0, s13                                     // 0000000060F0: 820D0D80
	v_mfma_f32_16x16x32_fp8_fp8 v[252:255], a[92:93], v[148:149], v[252:255]// 0000000060F4: D3F300FC 0FF3295C
	v_mfma_f32_16x16x32_fp8_fp8 v[252:255], a[94:95], v[150:151], v[252:255]// 0000000060FC: D3F300FC 0FF32D5E
	v_mul_f32_dpp v56, v24, v32 row_newbcast:0 row_mask:0xf bank_mask:0xf// 000000006104: 0A7040FA FF015018
	v_mov_b32_e32 v57, v56                                     // 00000000610C: 7E720338
	v_pk_mul_f32 v[224:225], v[56:57], v[224:225]              // 000000006110: D3B140E0 1803C138
	v_pk_mul_f32 v[226:227], v[56:57], v[226:227]              // 000000006118: D3B140E2 1803C538
	v_pk_mul_f32 v[232:233], v[56:57], v[232:233]              // 000000006120: D3B140E8 1803D138
	v_pk_mul_f32 v[234:235], v[56:57], v[234:235]              // 000000006128: D3B140EA 1803D538
	v_mul_f32_dpp v56, v24, v32 row_newbcast:1 row_mask:0xf bank_mask:0xf// 000000006130: 0A7040FA FF015118
	v_mov_b32_e32 v57, v56                                     // 000000006138: 7E720338
	v_pk_mul_f32 v[240:241], v[56:57], v[240:241]              // 00000000613C: D3B140F0 1803E138
	v_pk_mul_f32 v[242:243], v[56:57], v[242:243]              // 000000006144: D3B140F2 1803E538
	v_pk_mul_f32 v[248:249], v[56:57], v[248:249]              // 00000000614C: D3B140F8 1803F138
	v_pk_mul_f32 v[250:251], v[56:57], v[250:251]              // 000000006154: D3B140FA 1803F538
	v_mul_f32_dpp v56, v24, v33 row_newbcast:0 row_mask:0xf bank_mask:0xf// 00000000615C: 0A7042FA FF015018
	v_mov_b32_e32 v57, v56                                     // 000000006164: 7E720338
	v_pk_mul_f32 v[228:229], v[56:57], v[228:229]              // 000000006168: D3B140E4 1803C938
	v_pk_mul_f32 v[230:231], v[56:57], v[230:231]              // 000000006170: D3B140E6 1803CD38
	v_pk_mul_f32 v[236:237], v[56:57], v[236:237]              // 000000006178: D3B140EC 1803D938
	v_pk_mul_f32 v[238:239], v[56:57], v[238:239]              // 000000006180: D3B140EE 1803DD38
	v_mul_f32_dpp v56, v24, v33 row_newbcast:1 row_mask:0xf bank_mask:0xf// 000000006188: 0A7042FA FF015118
	v_mov_b32_e32 v57, v56                                     // 000000006190: 7E720338
	v_pk_mul_f32 v[244:245], v[56:57], v[244:245]              // 000000006194: D3B140F4 1803E938
	v_pk_mul_f32 v[246:247], v[56:57], v[246:247]              // 00000000619C: D3B140F6 1803ED38
	v_pk_mul_f32 v[252:253], v[56:57], v[252:253]              // 0000000061A4: D3B140FC 1803F938
	v_pk_mul_f32 v[254:255], v[56:57], v[254:255]              // 0000000061AC: D3B140FE 1803FD38
	s_waitcnt vmcnt(29)                                        // 0000000061B4: BF8C4F7D
	v_mfma_f32_16x16x32_fp8_fp8 v[160:163], a[96:97], v[136:137], 0// 0000000061B8: D3F300A0 0A031160
	ds_write_b64 v4, v[192:193] offset:20736                   // 0000000061C0: D89A5100 0000C004
	v_mfma_f32_16x16x32_fp8_fp8 v[160:163], a[98:99], v[138:139], v[160:163]// 0000000061C8: D3F300A0 0E831562
	buffer_load_dwordx4 a[32:35], v48, s[12:15], 0 offen       // 0000000061D0: E05C1000 80832030
	v_mfma_f32_16x16x32_fp8_fp8 v[164:167], a[96:97], v[152:153], 0// 0000000061D8: D3F300A4 0A033160
	ds_write_b64 v4, v[194:195] offset:29440                   // 0000000061E0: D89A7300 0000C204
	v_mfma_f32_16x16x32_fp8_fp8 v[164:167], a[98:99], v[154:155], v[164:167]// 0000000061E8: D3F300A4 0E933562
	v_mfma_f32_16x16x32_fp8_fp8 v[168:171], a[100:101], v[136:137], 0// 0000000061F0: D3F300A8 0A031164
	ds_write_b64 v4, v[196:197] offset:22912                   // 0000000061F8: D89A5980 0000C404
	v_mfma_f32_16x16x32_fp8_fp8 v[168:171], a[102:103], v[138:139], v[168:171]// 000000006200: D3F300A8 0EA31566
	buffer_load_dwordx4 a[36:39], v49, s[12:15], 0 offen       // 000000006208: E05C1000 80832431
	v_mfma_f32_16x16x32_fp8_fp8 v[172:175], a[100:101], v[152:153], 0// 000000006210: D3F300AC 0A033164
	ds_write_b64 v4, v[198:199] offset:31616                   // 000000006218: D89A7B80 0000C604
	v_mfma_f32_16x16x32_fp8_fp8 v[172:175], a[102:103], v[154:155], v[172:175]// 000000006220: D3F300AC 0EB33566
	v_mfma_f32_16x16x32_fp8_fp8 v[176:179], a[104:105], v[136:137], 0// 000000006228: D3F300B0 0A031168
	ds_write_b64 v4, v[200:201] offset:25088                   // 000000006230: D89A6200 0000C804
	v_mfma_f32_16x16x32_fp8_fp8 v[176:179], a[106:107], v[138:139], v[176:179]// 000000006238: D3F300B0 0EC3156A
	buffer_load_dwordx4 a[40:43], v50, s[12:15], 0 offen       // 000000006240: E05C1000 80832832
	v_mfma_f32_16x16x32_fp8_fp8 v[180:183], a[104:105], v[152:153], 0// 000000006248: D3F300B4 0A033168
	ds_write_b64 v4, v[202:203] offset:33792                   // 000000006250: D89A8400 0000CA04
	v_mfma_f32_16x16x32_fp8_fp8 v[180:183], a[106:107], v[154:155], v[180:183]// 000000006258: D3F300B4 0ED3356A
	v_mfma_f32_16x16x32_fp8_fp8 v[184:187], a[108:109], v[136:137], 0// 000000006260: D3F300B8 0A03116C
	ds_write_b64 v4, v[204:205] offset:27264                   // 000000006268: D89A6A80 0000CC04
	v_mfma_f32_16x16x32_fp8_fp8 v[184:187], a[110:111], v[138:139], v[184:187]// 000000006270: D3F300B8 0EE3156E
	buffer_load_dwordx4 a[44:47], v51, s[12:15], 0 offen       // 000000006278: E05C1000 80832C33
	s_add_u32 s12, s78, s12                                    // 000000006280: 800C0C4E
	s_addc_u32 s13, 0, s13                                     // 000000006284: 820D0D80
	v_mfma_f32_16x16x32_fp8_fp8 v[188:191], a[108:109], v[152:153], 0// 000000006288: D3F300BC 0A03316C
	ds_write_b64 v4, v[206:207] offset:35968                   // 000000006290: D89A8C80 0000CE04
	v_mfma_f32_16x16x32_fp8_fp8 v[188:191], a[110:111], v[154:155], v[188:191]// 000000006298: D3F300BC 0EF3356E
	s_waitcnt vmcnt(29)                                        // 0000000062A0: BF8C4F7D
	v_mfma_f32_16x16x32_fp8_fp8 v[160:163], a[112:113], v[140:141], v[160:163]// 0000000062A4: D3F300A0 0E831970
	v_mfma_f32_16x16x32_fp8_fp8 v[160:163], a[114:115], v[142:143], v[160:163]// 0000000062AC: D3F300A0 0E831D72
	buffer_load_dwordx4 a[48:51], v48, s[12:15], 0 offen       // 0000000062B4: E05C1000 80833030
	v_mfma_f32_16x16x32_fp8_fp8 v[164:167], a[112:113], v[156:157], v[164:167]// 0000000062BC: D3F300A4 0E933970
	v_mfma_f32_16x16x32_fp8_fp8 v[164:167], a[114:115], v[158:159], v[164:167]// 0000000062C4: D3F300A4 0E933D72
	v_mfma_f32_16x16x32_fp8_fp8 v[168:171], a[116:117], v[140:141], v[168:171]// 0000000062CC: D3F300A8 0EA31974
	v_mfma_f32_16x16x32_fp8_fp8 v[168:171], a[118:119], v[142:143], v[168:171]// 0000000062D4: D3F300A8 0EA31D76
	buffer_load_dwordx4 a[52:55], v49, s[12:15], 0 offen       // 0000000062DC: E05C1000 80833431
	v_mfma_f32_16x16x32_fp8_fp8 v[172:175], a[116:117], v[156:157], v[172:175]// 0000000062E4: D3F300AC 0EB33974
	v_mfma_f32_16x16x32_fp8_fp8 v[172:175], a[118:119], v[158:159], v[172:175]// 0000000062EC: D3F300AC 0EB33D76
	v_mfma_f32_16x16x32_fp8_fp8 v[176:179], a[120:121], v[140:141], v[176:179]// 0000000062F4: D3F300B0 0EC31978
	v_mfma_f32_16x16x32_fp8_fp8 v[176:179], a[122:123], v[142:143], v[176:179]// 0000000062FC: D3F300B0 0EC31D7A
	buffer_load_dwordx4 a[56:59], v50, s[12:15], 0 offen       // 000000006304: E05C1000 80833832
	v_mfma_f32_16x16x32_fp8_fp8 v[180:183], a[120:121], v[156:157], v[180:183]// 00000000630C: D3F300B4 0ED33978
	v_mfma_f32_16x16x32_fp8_fp8 v[180:183], a[122:123], v[158:159], v[180:183]// 000000006314: D3F300B4 0ED33D7A
	v_mfma_f32_16x16x32_fp8_fp8 v[184:187], a[124:125], v[140:141], v[184:187]// 00000000631C: D3F300B8 0EE3197C
	v_mfma_f32_16x16x32_fp8_fp8 v[184:187], a[126:127], v[142:143], v[184:187]// 000000006324: D3F300B8 0EE31D7E
	buffer_load_dwordx4 a[60:63], v51, s[12:15], 0 offen       // 00000000632C: E05C1000 80833C33
	v_mfma_f32_16x16x32_fp8_fp8 v[188:191], a[124:125], v[156:157], v[188:191]// 000000006334: D3F300BC 0EF3397C
	v_mfma_f32_16x16x32_fp8_fp8 v[188:191], a[126:127], v[158:159], v[188:191]// 00000000633C: D3F300BC 0EF33D7E
	v_mul_f32_dpp v56, v24, v34 row_newbcast:2 row_mask:0xf bank_mask:0xf// 000000006344: 0A7044FA FF015218
	v_mov_b32_e32 v57, v56                                     // 00000000634C: 7E720338
	v_pk_fma_f32 v[224:225], v[160:161], v[56:57], v[224:225]  // 000000006350: D3B040E0 1F8271A0
	v_pk_fma_f32 v[226:227], v[162:163], v[56:57], v[226:227]  // 000000006358: D3B040E2 1F8A71A2
	v_pk_fma_f32 v[232:233], v[168:169], v[56:57], v[232:233]  // 000000006360: D3B040E8 1FA271A8
	v_pk_fma_f32 v[234:235], v[170:171], v[56:57], v[234:235]  // 000000006368: D3B040EA 1FAA71AA
	v_mul_f32_dpp v56, v24, v34 row_newbcast:3 row_mask:0xf bank_mask:0xf// 000000006370: 0A7044FA FF015318
	v_mov_b32_e32 v57, v56                                     // 000000006378: 7E720338
	v_pk_fma_f32 v[240:241], v[176:177], v[56:57], v[240:241]  // 00000000637C: D3B040F0 1FC271B0
	v_pk_fma_f32 v[242:243], v[178:179], v[56:57], v[242:243]  // 000000006384: D3B040F2 1FCA71B2
	v_pk_fma_f32 v[248:249], v[184:185], v[56:57], v[248:249]  // 00000000638C: D3B040F8 1FE271B8
	v_pk_fma_f32 v[250:251], v[186:187], v[56:57], v[250:251]  // 000000006394: D3B040FA 1FEA71BA
	v_mul_f32_dpp v56, v24, v35 row_newbcast:2 row_mask:0xf bank_mask:0xf// 00000000639C: 0A7046FA FF015218
	v_mov_b32_e32 v57, v56                                     // 0000000063A4: 7E720338
	v_pk_fma_f32 v[228:229], v[164:165], v[56:57], v[228:229]  // 0000000063A8: D3B040E4 1F9271A4
	v_pk_fma_f32 v[230:231], v[166:167], v[56:57], v[230:231]  // 0000000063B0: D3B040E6 1F9A71A6
	v_pk_fma_f32 v[236:237], v[172:173], v[56:57], v[236:237]  // 0000000063B8: D3B040EC 1FB271AC
	v_pk_fma_f32 v[238:239], v[174:175], v[56:57], v[238:239]  // 0000000063C0: D3B040EE 1FBA71AE
	v_mul_f32_dpp v56, v24, v35 row_newbcast:3 row_mask:0xf bank_mask:0xf// 0000000063C8: 0A7046FA FF015318
	v_mov_b32_e32 v57, v56                                     // 0000000063D0: 7E720338
	v_pk_fma_f32 v[244:245], v[180:181], v[56:57], v[244:245]  // 0000000063D4: D3B040F4 1FD271B4
	v_pk_fma_f32 v[246:247], v[182:183], v[56:57], v[246:247]  // 0000000063DC: D3B040F6 1FDA71B6
	v_pk_fma_f32 v[252:253], v[188:189], v[56:57], v[252:253]  // 0000000063E4: D3B040FC 1FF271BC
	v_pk_fma_f32 v[254:255], v[190:191], v[56:57], v[254:255]  // 0000000063EC: D3B040FE 1FFA71BE
	s_add_u32 s60, 0x200, s80                                  // 0000000063F4: 803C50FF 00000200
	s_cmp_lt_u32 s60, s81                                      // 0000000063FC: BF0A513C
	s_cselect_b32 s56, s56, 0                                  // 000000006400: 85388038
	s_cselect_b32 s78, s78, 0                                  // 000000006404: 854E804E
	s_cselect_b32 s79, s79, 0                                  // 000000006408: 854F804F
	s_add_u32 s12, s56, s12                                    // 00000000640C: 800C0C38
	s_addc_u32 s13, 0, s13                                     // 000000006410: 820D0D80
	s_add_u32 s16, s79, s16                                    // 000000006414: 8010104F
	s_addc_u32 s17, 0, s17                                     // 000000006418: 82111180
	v_mov_b32_e32 v56, v25                                     // 00000000641C: 7E700319
	v_mov_b32_e32 v57, v25                                     // 000000006420: 7E720319
	v_pk_mul_f32 v[224:225], v[56:57], v[224:225]              // 000000006424: D3B140E0 1803C138
	v_pk_mul_f32 v[226:227], v[56:57], v[226:227]              // 00000000642C: D3B140E2 1803C538
	v_pk_mul_f32 v[232:233], v[56:57], v[232:233]              // 000000006434: D3B140E8 1803D138
	v_pk_mul_f32 v[234:235], v[56:57], v[234:235]              // 00000000643C: D3B140EA 1803D538
	v_pk_mul_f32 v[240:241], v[56:57], v[240:241]              // 000000006444: D3B140F0 1803E138
	v_pk_mul_f32 v[242:243], v[56:57], v[242:243]              // 00000000644C: D3B140F2 1803E538
	v_pk_mul_f32 v[248:249], v[56:57], v[248:249]              // 000000006454: D3B140F8 1803F138
	v_pk_mul_f32 v[250:251], v[56:57], v[250:251]              // 00000000645C: D3B140FA 1803F538
	v_mov_b32_e32 v56, v26                                     // 000000006464: 7E70031A
	v_mov_b32_e32 v57, v26                                     // 000000006468: 7E72031A
	v_pk_mul_f32 v[228:229], v[56:57], v[228:229]              // 00000000646C: D3B140E4 1803C938
	v_pk_mul_f32 v[230:231], v[56:57], v[230:231]              // 000000006474: D3B140E6 1803CD38
	v_pk_mul_f32 v[236:237], v[56:57], v[236:237]              // 00000000647C: D3B140EC 1803D938
	v_pk_mul_f32 v[238:239], v[56:57], v[238:239]              // 000000006484: D3B140EE 1803DD38
	v_pk_mul_f32 v[244:245], v[56:57], v[244:245]              // 00000000648C: D3B140F4 1803E938
	v_pk_mul_f32 v[246:247], v[56:57], v[246:247]              // 000000006494: D3B140F6 1803ED38
	v_pk_mul_f32 v[252:253], v[56:57], v[252:253]              // 00000000649C: D3B140FC 1803F938
	v_pk_mul_f32 v[254:255], v[56:57], v[254:255]              // 0000000064A4: D3B140FE 1803FD38
	v_cvt_pkrtz_f16_f32 v224, v224, v225                       // 0000000064AC: D29600E0 0003C3E0
	v_cvt_pkrtz_f16_f32 v225, v226, v227                       // 0000000064B4: D29600E1 0003C7E2
	v_cvt_pkrtz_f16_f32 v226, v228, v229                       // 0000000064BC: D29600E2 0003CBE4
	v_cvt_pkrtz_f16_f32 v227, v230, v231                       // 0000000064C4: D29600E3 0003CFE6
	v_cvt_pkrtz_f16_f32 v228, v232, v233                       // 0000000064CC: D29600E4 0003D3E8
	v_cvt_pkrtz_f16_f32 v229, v234, v235                       // 0000000064D4: D29600E5 0003D7EA
	v_cvt_pkrtz_f16_f32 v230, v236, v237                       // 0000000064DC: D29600E6 0003DBEC
	v_cvt_pkrtz_f16_f32 v231, v238, v239                       // 0000000064E4: D29600E7 0003DFEE
	v_cvt_pkrtz_f16_f32 v232, v240, v241                       // 0000000064EC: D29600E8 0003E3F0
	v_cvt_pkrtz_f16_f32 v233, v242, v243                       // 0000000064F4: D29600E9 0003E7F2
	v_cvt_pkrtz_f16_f32 v234, v244, v245                       // 0000000064FC: D29600EA 0003EBF4
	v_cvt_pkrtz_f16_f32 v235, v246, v247                       // 000000006504: D29600EB 0003EFF6
	v_cvt_pkrtz_f16_f32 v236, v248, v249                       // 00000000650C: D29600EC 0003F3F8
	v_cvt_pkrtz_f16_f32 v237, v250, v251                       // 000000006514: D29600ED 0003F7FA
	v_cvt_pkrtz_f16_f32 v238, v252, v253                       // 00000000651C: D29600EE 0003FBFC
	v_cvt_pkrtz_f16_f32 v239, v254, v255                       // 000000006524: D29600EF 0003FFFE
	s_cmp_ge_u32 s80, 0x200                                    // 00000000652C: BF09FF50 00000200
	s_cselect_b32 s59, 0x200, s59                              // 000000006534: 853B3BFF 00000200
	s_mov_b64 exec, s[20:21]                                   // 00000000653C: BEFE0114
	global_atomic_pk_add_f16 v80, v64, s[8:9]                  // 000000006540: DD388000 00084050
	s_mov_b64 exec, s[36:37]                                   // 000000006548: BEFE0124
	s_mov_b64 exec, s[20:21]                                   // 00000000654C: BEFE0114
	global_atomic_pk_add_f16 v80, v65, s[8:9] offset:256       // 000000006550: DD388100 00084150
	s_mov_b64 exec, s[36:37]                                   // 000000006558: BEFE0124
	s_mov_b64 exec, s[22:23]                                   // 00000000655C: BEFE0116
	global_atomic_pk_add_f16 v82, v66, s[8:9]                  // 000000006560: DD388000 00084252
	s_mov_b64 exec, s[36:37]                                   // 000000006568: BEFE0124
	s_mov_b64 exec, s[22:23]                                   // 00000000656C: BEFE0116
	global_atomic_pk_add_f16 v82, v67, s[8:9] offset:256       // 000000006570: DD388100 00084352
	s_mov_b64 exec, s[36:37]                                   // 000000006578: BEFE0124
	s_mov_b64 exec, s[24:25]                                   // 00000000657C: BEFE0118
	global_atomic_pk_add_f16 v84, v68, s[8:9]                  // 000000006580: DD388000 00084454
	s_mov_b64 exec, s[36:37]                                   // 000000006588: BEFE0124
	s_mov_b64 exec, s[24:25]                                   // 00000000658C: BEFE0118
	global_atomic_pk_add_f16 v84, v69, s[8:9] offset:256       // 000000006590: DD388100 00084554
	s_mov_b64 exec, s[36:37]                                   // 000000006598: BEFE0124
	s_mov_b64 exec, s[26:27]                                   // 00000000659C: BEFE011A
	global_atomic_pk_add_f16 v86, v70, s[8:9]                  // 0000000065A0: DD388000 00084656
	s_mov_b64 exec, s[36:37]                                   // 0000000065A8: BEFE0124
	s_mov_b64 exec, s[26:27]                                   // 0000000065AC: BEFE011A
	global_atomic_pk_add_f16 v86, v71, s[8:9] offset:256       // 0000000065B0: DD388100 00084756
	s_mov_b64 exec, s[36:37]                                   // 0000000065B8: BEFE0124
	s_mov_b64 exec, s[28:29]                                   // 0000000065BC: BEFE011C
	global_atomic_pk_add_f16 v88, v72, s[8:9]                  // 0000000065C0: DD388000 00084858
	s_mov_b64 exec, s[36:37]                                   // 0000000065C8: BEFE0124
	s_mov_b64 exec, s[28:29]                                   // 0000000065CC: BEFE011C
	global_atomic_pk_add_f16 v88, v73, s[8:9] offset:256       // 0000000065D0: DD388100 00084958
	s_mov_b64 exec, s[36:37]                                   // 0000000065D8: BEFE0124
	s_mov_b64 exec, s[30:31]                                   // 0000000065DC: BEFE011E
	global_atomic_pk_add_f16 v90, v74, s[8:9]                  // 0000000065E0: DD388000 00084A5A
	s_mov_b64 exec, s[36:37]                                   // 0000000065E8: BEFE0124
	s_mov_b64 exec, s[30:31]                                   // 0000000065EC: BEFE011E
	global_atomic_pk_add_f16 v90, v75, s[8:9] offset:256       // 0000000065F0: DD388100 00084B5A
	s_mov_b64 exec, s[36:37]                                   // 0000000065F8: BEFE0124
	s_mov_b64 exec, s[32:33]                                   // 0000000065FC: BEFE0120
	global_atomic_pk_add_f16 v92, v76, s[8:9]                  // 000000006600: DD388000 00084C5C
	s_mov_b64 exec, s[36:37]                                   // 000000006608: BEFE0124
	s_mov_b64 exec, s[32:33]                                   // 00000000660C: BEFE0120
	global_atomic_pk_add_f16 v92, v77, s[8:9] offset:256       // 000000006610: DD388100 00084D5C
	s_mov_b64 exec, s[36:37]                                   // 000000006618: BEFE0124
	s_mov_b64 exec, s[34:35]                                   // 00000000661C: BEFE0122
	global_atomic_pk_add_f16 v94, v78, s[8:9]                  // 000000006620: DD388000 00084E5E
	s_mov_b64 exec, s[36:37]                                   // 000000006628: BEFE0124
	s_mov_b64 exec, s[34:35]                                   // 00000000662C: BEFE0122
	global_atomic_pk_add_f16 v94, v79, s[8:9] offset:256       // 000000006630: DD388100 00084F5E
	s_mov_b64 exec, s[36:37]                                   // 000000006638: BEFE0124
	s_add_u32 s8, s59, s8                                      // 00000000663C: 8008083B
	s_addc_u32 s9, 0, s9                                       // 000000006640: 82090980
	s_addk_i32 s80, 0x100                                      // 000000006644: B7500100
	s_cmp_lt_i32 s80, s81                                      // 000000006648: BF045150
	s_cbranch_scc0 label_0E15                                  // 00000000664C: BF840001
	s_branch label_0A7C                                        // 000000006650: BF82FC67

0000000000006654 <label_0E15>:
	s_nop 0                                                    // 000000006654: BF800000
	s_nop 0                                                    // 000000006658: BF800000
	s_branch label_193D                                        // 00000000665C: BF820B25

0000000000006660 <label_0E18>:
	s_waitcnt vmcnt(8) lgkmcnt(0)                              // 000000006660: BF8C0078
	s_barrier                                                  // 000000006664: BF8A0000
	v_mfma_f32_16x16x32_fp8_fp8 v[160:163], a[0:1], v[192:193], 0// 000000006668: D3F300A0 0A038100
	buffer_load_dwordx4 a[64:67], v44, s[92:95], 0 offen       // 000000006670: E05C1000 8097402C
	v_mfma_f32_16x16x32_fp8_fp8 v[160:163], a[2:3], v[194:195], v[160:163]// 000000006678: D3F300A0 0E838502
	v_mfma_f32_16x16x32_fp8_fp8 v[160:163], a[4:5], v[196:197], v[160:163]// 000000006680: D3F300A0 0E838904
	buffer_load_dword v36, s[20:23], 0 offen lds               // 000000006688: E0511000 80050024
	s_add_u32 m0, 0x100, s51                                   // 000000006690: 807C33FF 00000100
	v_mfma_f32_16x16x32_fp8_fp8 v[160:163], a[6:7], v[198:199], v[160:163]// 000000006698: D3F300A0 0E838D06
	v_mfma_f32_16x16x32_fp8_fp8 v[164:167], a[0:1], v[208:209], 0// 0000000066A0: D3F300A4 0A03A100
	buffer_load_dwordx4 a[68:71], v44, s[92:95], 0 offen offset:1024// 0000000066A8: E05C1400 8097442C
	v_mfma_f32_16x16x32_fp8_fp8 v[164:167], a[2:3], v[210:211], v[164:167]// 0000000066B0: D3F300A4 0E93A502
	v_mfma_f32_16x16x32_fp8_fp8 v[164:167], a[4:5], v[212:213], v[164:167]// 0000000066B8: D3F300A4 0E93A904
	buffer_load_dword v37, s[20:23], 0 offen lds               // 0000000066C0: E0511000 80050025
	s_add_u32 m0, 0x200, s51                                   // 0000000066C8: 807C33FF 00000200
	v_mfma_f32_16x16x32_fp8_fp8 v[164:167], a[6:7], v[214:215], v[164:167]// 0000000066D0: D3F300A4 0E93AD06
	v_mfma_f32_16x16x32_fp8_fp8 v[168:171], a[16:17], v[192:193], 0// 0000000066D8: D3F300A8 0A038110
	buffer_load_dwordx4 a[80:83], v45, s[92:95], 0 offen       // 0000000066E0: E05C1000 8097502D
	v_mfma_f32_16x16x32_fp8_fp8 v[168:171], a[18:19], v[194:195], v[168:171]// 0000000066E8: D3F300A8 0EA38512
	v_mfma_f32_16x16x32_fp8_fp8 v[168:171], a[20:21], v[196:197], v[168:171]// 0000000066F0: D3F300A8 0EA38914
	buffer_load_dword v38, s[20:23], 0 offen lds               // 0000000066F8: E0511000 80050026
	s_add_u32 m0, 0x300, s51                                   // 000000006700: 807C33FF 00000300
	v_mfma_f32_16x16x32_fp8_fp8 v[168:171], a[22:23], v[198:199], v[168:171]// 000000006708: D3F300A8 0EA38D16
	v_mfma_f32_16x16x32_fp8_fp8 v[172:175], a[16:17], v[208:209], 0// 000000006710: D3F300AC 0A03A110
	buffer_load_dwordx4 a[84:87], v45, s[92:95], 0 offen offset:1024// 000000006718: E05C1400 8097542D
	v_mfma_f32_16x16x32_fp8_fp8 v[172:175], a[18:19], v[210:211], v[172:175]// 000000006720: D3F300AC 0EB3A512
	v_mfma_f32_16x16x32_fp8_fp8 v[172:175], a[20:21], v[212:213], v[172:175]// 000000006728: D3F300AC 0EB3A914
	buffer_load_dword v39, s[20:23], 0 offen lds               // 000000006730: E0511000 80050027
	s_add_u32 m0, 0x400, s51                                   // 000000006738: 807C33FF 00000400
	v_mfma_f32_16x16x32_fp8_fp8 v[172:175], a[22:23], v[214:215], v[172:175]// 000000006740: D3F300AC 0EB3AD16
	v_mfma_f32_16x16x32_fp8_fp8 v[176:179], a[32:33], v[192:193], 0// 000000006748: D3F300B0 0A038120
	buffer_load_dwordx4 a[96:99], v46, s[92:95], 0 offen       // 000000006750: E05C1000 8097602E
	v_mfma_f32_16x16x32_fp8_fp8 v[176:179], a[34:35], v[194:195], v[176:179]// 000000006758: D3F300B0 0EC38522
	v_mfma_f32_16x16x32_fp8_fp8 v[176:179], a[36:37], v[196:197], v[176:179]// 000000006760: D3F300B0 0EC38924
	buffer_load_dword v40, s[20:23], 0 offen lds               // 000000006768: E0511000 80050028
	s_add_u32 m0, 0x500, s51                                   // 000000006770: 807C33FF 00000500
	v_mfma_f32_16x16x32_fp8_fp8 v[176:179], a[38:39], v[198:199], v[176:179]// 000000006778: D3F300B0 0EC38D26
	v_mfma_f32_16x16x32_fp8_fp8 v[180:183], a[32:33], v[208:209], 0// 000000006780: D3F300B4 0A03A120
	buffer_load_dwordx4 a[100:103], v46, s[92:95], 0 offen offset:1024// 000000006788: E05C1400 8097642E
	v_mfma_f32_16x16x32_fp8_fp8 v[180:183], a[34:35], v[210:211], v[180:183]// 000000006790: D3F300B4 0ED3A522
	v_mfma_f32_16x16x32_fp8_fp8 v[180:183], a[36:37], v[212:213], v[180:183]// 000000006798: D3F300B4 0ED3A924
	buffer_load_dword v41, s[20:23], 0 offen lds               // 0000000067A0: E0511000 80050029
	s_add_u32 m0, 0x600, s51                                   // 0000000067A8: 807C33FF 00000600
	v_mfma_f32_16x16x32_fp8_fp8 v[180:183], a[38:39], v[214:215], v[180:183]// 0000000067B0: D3F300B4 0ED3AD26
	v_mfma_f32_16x16x32_fp8_fp8 v[184:187], a[48:49], v[192:193], 0// 0000000067B8: D3F300B8 0A038130
	buffer_load_dwordx4 a[112:115], v47, s[92:95], 0 offen     // 0000000067C0: E05C1000 8097702F
	v_mfma_f32_16x16x32_fp8_fp8 v[184:187], a[50:51], v[194:195], v[184:187]// 0000000067C8: D3F300B8 0EE38532
	v_mfma_f32_16x16x32_fp8_fp8 v[184:187], a[52:53], v[196:197], v[184:187]// 0000000067D0: D3F300B8 0EE38934
	buffer_load_dword v42, s[20:23], 0 offen lds               // 0000000067D8: E0511000 8005002A
	s_add_u32 m0, 0x700, s51                                   // 0000000067E0: 807C33FF 00000700
	v_mfma_f32_16x16x32_fp8_fp8 v[184:187], a[54:55], v[198:199], v[184:187]// 0000000067E8: D3F300B8 0EE38D36
	v_mfma_f32_16x16x32_fp8_fp8 v[188:191], a[48:49], v[208:209], 0// 0000000067F0: D3F300BC 0A03A130
	buffer_load_dwordx4 a[116:119], v47, s[92:95], 0 offen offset:1024// 0000000067F8: E05C1400 8097742F
	v_mfma_f32_16x16x32_fp8_fp8 v[188:191], a[50:51], v[210:211], v[188:191]// 000000006800: D3F300BC 0EF3A532
	v_mfma_f32_16x16x32_fp8_fp8 v[188:191], a[52:53], v[212:213], v[188:191]// 000000006808: D3F300BC 0EF3A934
	buffer_load_dword v43, s[20:23], 0 offen lds               // 000000006810: E0511000 8005002B
	s_add_u32 m0, s51, s76                                     // 000000006818: 807C4C33
	v_mfma_f32_16x16x32_fp8_fp8 v[188:191], a[54:55], v[214:215], v[188:191]// 00000000681C: D3F300BC 0EF3AD36
	buffer_load_dword v7, s[28:31], 0 offen lds                // 000000006824: E0511000 80070007
	s_add_u32 m0, 0, s50                                       // 00000000682C: 807C3280
	buffer_load_dword v24, v13, s[32:35], 0 offen              // 000000006830: E0501000 8008180D
	v_mul_f32_dpp v56, v23, v15 row_newbcast:0 row_mask:0xf bank_mask:0xf// 000000006838: 0A701EFA FF015017
	v_mov_b32_e32 v57, v56                                     // 000000006840: 7E720338
	v_pk_fma_f32 v[128:129], v[160:161], v[56:57], v[128:129]  // 000000006844: D3B04080 1E0271A0
	v_pk_fma_f32 v[130:131], v[162:163], v[56:57], v[130:131]  // 00000000684C: D3B04082 1E0A71A2
	v_pk_fma_f32 v[136:137], v[168:169], v[56:57], v[136:137]  // 000000006854: D3B04088 1E2271A8
	v_pk_fma_f32 v[138:139], v[170:171], v[56:57], v[138:139]  // 00000000685C: D3B0408A 1E2A71AA
	v_mul_f32_dpp v56, v23, v15 row_newbcast:1 row_mask:0xf bank_mask:0xf// 000000006864: 0A701EFA FF015117
	v_mov_b32_e32 v57, v56                                     // 00000000686C: 7E720338
	v_pk_fma_f32 v[144:145], v[176:177], v[56:57], v[144:145]  // 000000006870: D3B04090 1E4271B0
	v_pk_fma_f32 v[146:147], v[178:179], v[56:57], v[146:147]  // 000000006878: D3B04092 1E4A71B2
	v_pk_fma_f32 v[152:153], v[184:185], v[56:57], v[152:153]  // 000000006880: D3B04098 1E6271B8
	v_pk_fma_f32 v[154:155], v[186:187], v[56:57], v[154:155]  // 000000006888: D3B0409A 1E6A71BA
	v_mul_f32_dpp v56, v23, v16 row_newbcast:0 row_mask:0xf bank_mask:0xf// 000000006890: 0A7020FA FF015017
	v_mov_b32_e32 v57, v56                                     // 000000006898: 7E720338
	v_pk_fma_f32 v[132:133], v[164:165], v[56:57], v[132:133]  // 00000000689C: D3B04084 1E1271A4
	v_pk_fma_f32 v[134:135], v[166:167], v[56:57], v[134:135]  // 0000000068A4: D3B04086 1E1A71A6
	v_pk_fma_f32 v[140:141], v[172:173], v[56:57], v[140:141]  // 0000000068AC: D3B0408C 1E3271AC
	v_pk_fma_f32 v[142:143], v[174:175], v[56:57], v[142:143]  // 0000000068B4: D3B0408E 1E3A71AE
	v_mul_f32_dpp v56, v23, v16 row_newbcast:1 row_mask:0xf bank_mask:0xf// 0000000068BC: 0A7020FA FF015117
	v_mov_b32_e32 v57, v56                                     // 0000000068C4: 7E720338
	v_pk_fma_f32 v[148:149], v[180:181], v[56:57], v[148:149]  // 0000000068C8: D3B04094 1E5271B4
	v_pk_fma_f32 v[150:151], v[182:183], v[56:57], v[150:151]  // 0000000068D0: D3B04096 1E5A71B6
	v_pk_fma_f32 v[156:157], v[188:189], v[56:57], v[156:157]  // 0000000068D8: D3B0409C 1E7271BC
	v_pk_fma_f32 v[158:159], v[190:191], v[56:57], v[158:159]  // 0000000068E0: D3B0409E 1E7A71BE
	s_waitcnt vmcnt(22)                                        // 0000000068E8: BF8C4F76
	v_mfma_f32_16x16x32_fp8_fp8 v[160:163], a[8:9], v[200:201], 0// 0000000068EC: D3F300A0 0A039108
	buffer_load_dwordx4 a[72:75], v44, s[92:95], 0 offen offset:2048// 0000000068F4: E05C1800 8097482C
	v_mfma_f32_16x16x32_fp8_fp8 v[160:163], a[10:11], v[202:203], v[160:163]// 0000000068FC: D3F300A0 0E83950A
	v_mfma_f32_16x16x32_fp8_fp8 v[160:163], a[12:13], v[204:205], v[160:163]// 000000006904: D3F300A0 0E83990C
	v_mfma_f32_16x16x32_fp8_fp8 v[160:163], a[14:15], v[206:207], v[160:163]// 00000000690C: D3F300A0 0E839D0E
	v_mfma_f32_16x16x32_fp8_fp8 v[164:167], a[8:9], v[216:217], 0// 000000006914: D3F300A4 0A03B108
	buffer_load_dwordx4 a[76:79], v44, s[92:95], 0 offen offset:3072// 00000000691C: E05C1C00 80974C2C
	v_mfma_f32_16x16x32_fp8_fp8 v[164:167], a[10:11], v[218:219], v[164:167]// 000000006924: D3F300A4 0E93B50A
	v_mfma_f32_16x16x32_fp8_fp8 v[164:167], a[12:13], v[220:221], v[164:167]// 00000000692C: D3F300A4 0E93B90C
	v_mfma_f32_16x16x32_fp8_fp8 v[164:167], a[14:15], v[222:223], v[164:167]// 000000006934: D3F300A4 0E93BD0E
	v_mfma_f32_16x16x32_fp8_fp8 v[168:171], a[24:25], v[200:201], 0// 00000000693C: D3F300A8 0A039118
	buffer_load_dwordx4 a[88:91], v45, s[92:95], 0 offen offset:2048// 000000006944: E05C1800 8097582D
	v_mfma_f32_16x16x32_fp8_fp8 v[168:171], a[26:27], v[202:203], v[168:171]// 00000000694C: D3F300A8 0EA3951A
	v_mfma_f32_16x16x32_fp8_fp8 v[168:171], a[28:29], v[204:205], v[168:171]// 000000006954: D3F300A8 0EA3991C
	v_mfma_f32_16x16x32_fp8_fp8 v[168:171], a[30:31], v[206:207], v[168:171]// 00000000695C: D3F300A8 0EA39D1E
	v_mfma_f32_16x16x32_fp8_fp8 v[172:175], a[24:25], v[216:217], 0// 000000006964: D3F300AC 0A03B118
	buffer_load_dwordx4 a[92:95], v45, s[92:95], 0 offen offset:3072// 00000000696C: E05C1C00 80975C2D
	v_mfma_f32_16x16x32_fp8_fp8 v[172:175], a[26:27], v[218:219], v[172:175]// 000000006974: D3F300AC 0EB3B51A
	v_mfma_f32_16x16x32_fp8_fp8 v[172:175], a[28:29], v[220:221], v[172:175]// 00000000697C: D3F300AC 0EB3B91C
	v_mfma_f32_16x16x32_fp8_fp8 v[172:175], a[30:31], v[222:223], v[172:175]// 000000006984: D3F300AC 0EB3BD1E
	s_waitcnt vmcnt(22)                                        // 00000000698C: BF8C4F76
	v_mfma_f32_16x16x32_fp8_fp8 v[176:179], a[40:41], v[200:201], 0// 000000006990: D3F300B0 0A039128
	buffer_load_dwordx4 a[104:107], v46, s[92:95], 0 offen offset:2048// 000000006998: E05C1800 8097682E
	v_mfma_f32_16x16x32_fp8_fp8 v[176:179], a[42:43], v[202:203], v[176:179]// 0000000069A0: D3F300B0 0EC3952A
	v_mfma_f32_16x16x32_fp8_fp8 v[176:179], a[44:45], v[204:205], v[176:179]// 0000000069A8: D3F300B0 0EC3992C
	v_mfma_f32_16x16x32_fp8_fp8 v[176:179], a[46:47], v[206:207], v[176:179]// 0000000069B0: D3F300B0 0EC39D2E
	v_mfma_f32_16x16x32_fp8_fp8 v[180:183], a[40:41], v[216:217], 0// 0000000069B8: D3F300B4 0A03B128
	buffer_load_dwordx4 a[108:111], v46, s[92:95], 0 offen offset:3072// 0000000069C0: E05C1C00 80976C2E
	v_mfma_f32_16x16x32_fp8_fp8 v[180:183], a[42:43], v[218:219], v[180:183]// 0000000069C8: D3F300B4 0ED3B52A
	v_mfma_f32_16x16x32_fp8_fp8 v[180:183], a[44:45], v[220:221], v[180:183]// 0000000069D0: D3F300B4 0ED3B92C
	v_mfma_f32_16x16x32_fp8_fp8 v[180:183], a[46:47], v[222:223], v[180:183]// 0000000069D8: D3F300B4 0ED3BD2E
	v_mfma_f32_16x16x32_fp8_fp8 v[184:187], a[56:57], v[200:201], 0// 0000000069E0: D3F300B8 0A039138
	buffer_load_dwordx4 a[120:123], v47, s[92:95], 0 offen offset:2048// 0000000069E8: E05C1800 8097782F
	v_mfma_f32_16x16x32_fp8_fp8 v[184:187], a[58:59], v[202:203], v[184:187]// 0000000069F0: D3F300B8 0EE3953A
	v_mfma_f32_16x16x32_fp8_fp8 v[184:187], a[60:61], v[204:205], v[184:187]// 0000000069F8: D3F300B8 0EE3993C
	v_mfma_f32_16x16x32_fp8_fp8 v[184:187], a[62:63], v[206:207], v[184:187]// 000000006A00: D3F300B8 0EE39D3E
	v_mfma_f32_16x16x32_fp8_fp8 v[188:191], a[56:57], v[216:217], 0// 000000006A08: D3F300BC 0A03B138
	buffer_load_dwordx4 a[124:127], v47, s[92:95], 0 offen offset:3072// 000000006A10: E05C1C00 80977C2F
	v_mfma_f32_16x16x32_fp8_fp8 v[188:191], a[58:59], v[218:219], v[188:191]// 000000006A18: D3F300BC 0EF3B53A
	v_mfma_f32_16x16x32_fp8_fp8 v[188:191], a[60:61], v[220:221], v[188:191]// 000000006A20: D3F300BC 0EF3B93C
	v_mfma_f32_16x16x32_fp8_fp8 v[188:191], a[62:63], v[222:223], v[188:191]// 000000006A28: D3F300BC 0EF3BD3E
	v_mul_f32_dpp v56, v23, v17 row_newbcast:2 row_mask:0xf bank_mask:0xf// 000000006A30: 0A7022FA FF015217
	v_mov_b32_e32 v57, v56                                     // 000000006A38: 7E720338
	v_pk_fma_f32 v[128:129], v[160:161], v[56:57], v[128:129]  // 000000006A3C: D3B04080 1E0271A0
	v_pk_fma_f32 v[130:131], v[162:163], v[56:57], v[130:131]  // 000000006A44: D3B04082 1E0A71A2
	v_pk_fma_f32 v[136:137], v[168:169], v[56:57], v[136:137]  // 000000006A4C: D3B04088 1E2271A8
	v_pk_fma_f32 v[138:139], v[170:171], v[56:57], v[138:139]  // 000000006A54: D3B0408A 1E2A71AA
	v_mul_f32_dpp v56, v23, v17 row_newbcast:3 row_mask:0xf bank_mask:0xf// 000000006A5C: 0A7022FA FF015317
	v_mov_b32_e32 v57, v56                                     // 000000006A64: 7E720338
	v_pk_fma_f32 v[144:145], v[176:177], v[56:57], v[144:145]  // 000000006A68: D3B04090 1E4271B0
	v_pk_fma_f32 v[146:147], v[178:179], v[56:57], v[146:147]  // 000000006A70: D3B04092 1E4A71B2
	v_pk_fma_f32 v[152:153], v[184:185], v[56:57], v[152:153]  // 000000006A78: D3B04098 1E6271B8
	v_pk_fma_f32 v[154:155], v[186:187], v[56:57], v[154:155]  // 000000006A80: D3B0409A 1E6A71BA
	v_mul_f32_dpp v56, v23, v18 row_newbcast:2 row_mask:0xf bank_mask:0xf// 000000006A88: 0A7024FA FF015217
	v_mov_b32_e32 v57, v56                                     // 000000006A90: 7E720338
	v_pk_fma_f32 v[132:133], v[164:165], v[56:57], v[132:133]  // 000000006A94: D3B04084 1E1271A4
	v_pk_fma_f32 v[134:135], v[166:167], v[56:57], v[134:135]  // 000000006A9C: D3B04086 1E1A71A6
	v_pk_fma_f32 v[140:141], v[172:173], v[56:57], v[140:141]  // 000000006AA4: D3B0408C 1E3271AC
	v_pk_fma_f32 v[142:143], v[174:175], v[56:57], v[142:143]  // 000000006AAC: D3B0408E 1E3A71AE
	v_mul_f32_dpp v56, v23, v18 row_newbcast:3 row_mask:0xf bank_mask:0xf// 000000006AB4: 0A7024FA FF015317
	v_mov_b32_e32 v57, v56                                     // 000000006ABC: 7E720338
	v_pk_fma_f32 v[148:149], v[180:181], v[56:57], v[148:149]  // 000000006AC0: D3B04094 1E5271B4
	v_pk_fma_f32 v[150:151], v[182:183], v[56:57], v[150:151]  // 000000006AC8: D3B04096 1E5A71B6
	v_pk_fma_f32 v[156:157], v[188:189], v[56:57], v[156:157]  // 000000006AD0: D3B0409C 1E7271BC
	v_pk_fma_f32 v[158:159], v[190:191], v[56:57], v[158:159]  // 000000006AD8: D3B0409E 1E7A71BE
	s_add_u32 s60, 0x100, s80                                  // 000000006AE0: 803C50FF 00000100
	s_cmp_lt_u32 s60, s81                                      // 000000006AE8: BF0A513C
	s_cselect_b32 s4, s4, 0                                    // 000000006AEC: 85048004
	s_add_u32 s32, s4, s32                                     // 000000006AF0: 80202004
	s_addc_u32 s33, 0, s33                                     // 000000006AF4: 82212180
	s_waitcnt vmcnt(8)                                         // 000000006AF8: BF8C0F78
	s_barrier                                                  // 000000006AFC: BF8A0000
	v_mfma_f32_16x16x32_fp8_fp8 v[96:99], a[64:65], v[192:193], 0// 000000006B00: D3F30060 0A038140
	buffer_load_dwordx4 a[0:3], v44, s[24:27], 0 offen         // 000000006B08: E05C1000 8086002C
	v_mfma_f32_16x16x32_fp8_fp8 v[96:99], a[66:67], v[194:195], v[96:99]// 000000006B10: D3F30060 0D838542
	v_mfma_f32_16x16x32_fp8_fp8 v[96:99], a[68:69], v[196:197], v[96:99]// 000000006B18: D3F30060 0D838944
	buffer_load_dword v23, v11, s[32:35], 0 offen              // 000000006B20: E0501000 8008170B
	v_mfma_f32_16x16x32_fp8_fp8 v[96:99], a[70:71], v[198:199], v[96:99]// 000000006B28: D3F30060 0D838D46
	v_mfma_f32_16x16x32_fp8_fp8 v[100:103], a[64:65], v[208:209], 0// 000000006B30: D3F30064 0A03A140
	buffer_load_dwordx4 a[4:7], v44, s[24:27], 0 offen offset:1024// 000000006B38: E05C1400 8086042C
	v_mfma_f32_16x16x32_fp8_fp8 v[100:103], a[66:67], v[210:211], v[100:103]// 000000006B40: D3F30064 0D93A542
	v_mfma_f32_16x16x32_fp8_fp8 v[100:103], a[68:69], v[212:213], v[100:103]// 000000006B48: D3F30064 0D93A944
	v_mfma_f32_16x16x32_fp8_fp8 v[100:103], a[70:71], v[214:215], v[100:103]// 000000006B50: D3F30064 0D93AD46
	v_mfma_f32_16x16x32_fp8_fp8 v[104:107], a[80:81], v[192:193], 0// 000000006B58: D3F30068 0A038150
	buffer_load_dwordx4 a[16:19], v45, s[24:27], 0 offen       // 000000006B60: E05C1000 8086102D
	v_mfma_f32_16x16x32_fp8_fp8 v[104:107], a[82:83], v[194:195], v[104:107]// 000000006B68: D3F30068 0DA38552
	v_mfma_f32_16x16x32_fp8_fp8 v[104:107], a[84:85], v[196:197], v[104:107]// 000000006B70: D3F30068 0DA38954
	v_mfma_f32_16x16x32_fp8_fp8 v[104:107], a[86:87], v[198:199], v[104:107]// 000000006B78: D3F30068 0DA38D56
	v_mfma_f32_16x16x32_fp8_fp8 v[108:111], a[80:81], v[208:209], 0// 000000006B80: D3F3006C 0A03A150
	buffer_load_dwordx4 a[20:23], v45, s[24:27], 0 offen offset:1024// 000000006B88: E05C1400 8086142D
	v_mfma_f32_16x16x32_fp8_fp8 v[108:111], a[82:83], v[210:211], v[108:111]// 000000006B90: D3F3006C 0DB3A552
	v_mfma_f32_16x16x32_fp8_fp8 v[108:111], a[84:85], v[212:213], v[108:111]// 000000006B98: D3F3006C 0DB3A954
	v_mfma_f32_16x16x32_fp8_fp8 v[108:111], a[86:87], v[214:215], v[108:111]// 000000006BA0: D3F3006C 0DB3AD56
	v_mfma_f32_16x16x32_fp8_fp8 v[112:115], a[96:97], v[192:193], 0// 000000006BA8: D3F30070 0A038160
	buffer_load_dwordx4 a[32:35], v46, s[24:27], 0 offen       // 000000006BB0: E05C1000 8086202E
	v_mfma_f32_16x16x32_fp8_fp8 v[112:115], a[98:99], v[194:195], v[112:115]// 000000006BB8: D3F30070 0DC38562
	v_mfma_f32_16x16x32_fp8_fp8 v[112:115], a[100:101], v[196:197], v[112:115]// 000000006BC0: D3F30070 0DC38964
	v_mfma_f32_16x16x32_fp8_fp8 v[112:115], a[102:103], v[198:199], v[112:115]// 000000006BC8: D3F30070 0DC38D66
	v_mfma_f32_16x16x32_fp8_fp8 v[116:119], a[96:97], v[208:209], 0// 000000006BD0: D3F30074 0A03A160
	buffer_load_dwordx4 a[36:39], v46, s[24:27], 0 offen offset:1024// 000000006BD8: E05C1400 8086242E
	v_mfma_f32_16x16x32_fp8_fp8 v[116:119], a[98:99], v[210:211], v[116:119]// 000000006BE0: D3F30074 0DD3A562
	v_mfma_f32_16x16x32_fp8_fp8 v[116:119], a[100:101], v[212:213], v[116:119]// 000000006BE8: D3F30074 0DD3A964
	v_mfma_f32_16x16x32_fp8_fp8 v[116:119], a[102:103], v[214:215], v[116:119]// 000000006BF0: D3F30074 0DD3AD66
	v_mfma_f32_16x16x32_fp8_fp8 v[120:123], a[112:113], v[192:193], 0// 000000006BF8: D3F30078 0A038170
	buffer_load_dwordx4 a[48:51], v47, s[24:27], 0 offen       // 000000006C00: E05C1000 8086302F
	v_mfma_f32_16x16x32_fp8_fp8 v[120:123], a[114:115], v[194:195], v[120:123]// 000000006C08: D3F30078 0DE38572
	v_mfma_f32_16x16x32_fp8_fp8 v[120:123], a[116:117], v[196:197], v[120:123]// 000000006C10: D3F30078 0DE38974
	v_mfma_f32_16x16x32_fp8_fp8 v[120:123], a[118:119], v[198:199], v[120:123]// 000000006C18: D3F30078 0DE38D76
	v_mfma_f32_16x16x32_fp8_fp8 v[124:127], a[112:113], v[208:209], 0// 000000006C20: D3F3007C 0A03A170
	buffer_load_dwordx4 a[52:55], v47, s[24:27], 0 offen offset:1024// 000000006C28: E05C1400 8086342F
	v_mfma_f32_16x16x32_fp8_fp8 v[124:127], a[114:115], v[210:211], v[124:127]// 000000006C30: D3F3007C 0DF3A572
	v_mfma_f32_16x16x32_fp8_fp8 v[124:127], a[116:117], v[212:213], v[124:127]// 000000006C38: D3F3007C 0DF3A974
	v_mfma_f32_16x16x32_fp8_fp8 v[124:127], a[118:119], v[214:215], v[124:127]// 000000006C40: D3F3007C 0DF3AD76
	v_mul_f32_dpp v56, v24, v15 row_newbcast:0 row_mask:0xf bank_mask:0xf// 000000006C48: 0A701EFA FF015018
	v_mov_b32_e32 v57, v56                                     // 000000006C50: 7E720338
	v_pk_fma_f32 v[64:65], v[96:97], v[56:57], v[64:65]        // 000000006C54: D3B04040 1D027160
	v_pk_fma_f32 v[66:67], v[98:99], v[56:57], v[66:67]        // 000000006C5C: D3B04042 1D0A7162
	v_pk_fma_f32 v[72:73], v[104:105], v[56:57], v[72:73]      // 000000006C64: D3B04048 1D227168
	v_pk_fma_f32 v[74:75], v[106:107], v[56:57], v[74:75]      // 000000006C6C: D3B0404A 1D2A716A
	v_mul_f32_dpp v56, v24, v15 row_newbcast:1 row_mask:0xf bank_mask:0xf// 000000006C74: 0A701EFA FF015118
	v_mov_b32_e32 v57, v56                                     // 000000006C7C: 7E720338
	v_pk_fma_f32 v[80:81], v[112:113], v[56:57], v[80:81]      // 000000006C80: D3B04050 1D427170
	v_pk_fma_f32 v[82:83], v[114:115], v[56:57], v[82:83]      // 000000006C88: D3B04052 1D4A7172
	v_pk_fma_f32 v[88:89], v[120:121], v[56:57], v[88:89]      // 000000006C90: D3B04058 1D627178
	v_pk_fma_f32 v[90:91], v[122:123], v[56:57], v[90:91]      // 000000006C98: D3B0405A 1D6A717A
	v_mul_f32_dpp v56, v24, v16 row_newbcast:0 row_mask:0xf bank_mask:0xf// 000000006CA0: 0A7020FA FF015018
	v_mov_b32_e32 v57, v56                                     // 000000006CA8: 7E720338
	v_pk_fma_f32 v[68:69], v[100:101], v[56:57], v[68:69]      // 000000006CAC: D3B04044 1D127164
	v_pk_fma_f32 v[70:71], v[102:103], v[56:57], v[70:71]      // 000000006CB4: D3B04046 1D1A7166
	v_pk_fma_f32 v[76:77], v[108:109], v[56:57], v[76:77]      // 000000006CBC: D3B0404C 1D32716C
	v_pk_fma_f32 v[78:79], v[110:111], v[56:57], v[78:79]      // 000000006CC4: D3B0404E 1D3A716E
	v_mul_f32_dpp v56, v24, v16 row_newbcast:1 row_mask:0xf bank_mask:0xf// 000000006CCC: 0A7020FA FF015118
	v_mov_b32_e32 v57, v56                                     // 000000006CD4: 7E720338
	v_pk_fma_f32 v[84:85], v[116:117], v[56:57], v[84:85]      // 000000006CD8: D3B04054 1D527174
	v_pk_fma_f32 v[86:87], v[118:119], v[56:57], v[86:87]      // 000000006CE0: D3B04056 1D5A7176
	v_pk_fma_f32 v[92:93], v[124:125], v[56:57], v[92:93]      // 000000006CE8: D3B0405C 1D72717C
	v_pk_fma_f32 v[94:95], v[126:127], v[56:57], v[94:95]      // 000000006CF0: D3B0405E 1D7A717E
	s_waitcnt vmcnt(13)                                        // 000000006CF8: BF8C0F7D
	v_mfma_f32_16x16x32_fp8_fp8 v[96:99], a[72:73], v[200:201], 0// 000000006CFC: D3F30060 0A039148
	buffer_load_dwordx4 a[8:11], v44, s[24:27], 0 offen offset:2048// 000000006D04: E05C1800 8086082C
	v_mfma_f32_16x16x32_fp8_fp8 v[96:99], a[74:75], v[202:203], v[96:99]// 000000006D0C: D3F30060 0D83954A
	v_mfma_f32_16x16x32_fp8_fp8 v[96:99], a[76:77], v[204:205], v[96:99]// 000000006D14: D3F30060 0D83994C
	ds_read_b128 v[224:227], v2 offset:9344                    // 000000006D1C: D9FE2480 E0000002
	ds_read_b32 v19, v3 offset:17664                           // 000000006D24: D86C4500 13000003
	v_mfma_f32_16x16x32_fp8_fp8 v[96:99], a[78:79], v[206:207], v[96:99]// 000000006D2C: D3F30060 0D839D4E
	v_mfma_f32_16x16x32_fp8_fp8 v[100:103], a[72:73], v[216:217], 0// 000000006D34: D3F30064 0A03B148
	buffer_load_dwordx4 a[12:15], v44, s[24:27], 0 offen offset:3072// 000000006D3C: E05C1C00 80860C2C
	v_mfma_f32_16x16x32_fp8_fp8 v[100:103], a[74:75], v[218:219], v[100:103]// 000000006D44: D3F30064 0D93B54A
	v_mfma_f32_16x16x32_fp8_fp8 v[100:103], a[76:77], v[220:221], v[100:103]// 000000006D4C: D3F30064 0D93B94C
	ds_read_b128 v[228:231], v2 offset:9408                    // 000000006D54: D9FE24C0 E4000002
	ds_read_b32 v20, v3 offset:17920                           // 000000006D5C: D86C4600 14000003
	v_mfma_f32_16x16x32_fp8_fp8 v[100:103], a[78:79], v[222:223], v[100:103]// 000000006D64: D3F30064 0D93BD4E
	v_mfma_f32_16x16x32_fp8_fp8 v[104:107], a[88:89], v[200:201], 0// 000000006D6C: D3F30068 0A039158
	buffer_load_dwordx4 a[24:27], v45, s[24:27], 0 offen offset:2048// 000000006D74: E05C1800 8086182D
	v_mfma_f32_16x16x32_fp8_fp8 v[104:107], a[90:91], v[202:203], v[104:107]// 000000006D7C: D3F30068 0DA3955A
	v_mfma_f32_16x16x32_fp8_fp8 v[104:107], a[92:93], v[204:205], v[104:107]// 000000006D84: D3F30068 0DA3995C
	ds_read_b128 v[232:235], v2 offset:9472                    // 000000006D8C: D9FE2500 E8000002
	ds_read_b32 v21, v3 offset:18176                           // 000000006D94: D86C4700 15000003
	v_mfma_f32_16x16x32_fp8_fp8 v[104:107], a[94:95], v[206:207], v[104:107]// 000000006D9C: D3F30068 0DA39D5E
	v_mfma_f32_16x16x32_fp8_fp8 v[108:111], a[88:89], v[216:217], 0// 000000006DA4: D3F3006C 0A03B158
	buffer_load_dwordx4 a[28:31], v45, s[24:27], 0 offen offset:3072// 000000006DAC: E05C1C00 80861C2D
	v_mfma_f32_16x16x32_fp8_fp8 v[108:111], a[90:91], v[218:219], v[108:111]// 000000006DB4: D3F3006C 0DB3B55A
	v_mfma_f32_16x16x32_fp8_fp8 v[108:111], a[92:93], v[220:221], v[108:111]// 000000006DBC: D3F3006C 0DB3B95C
	ds_read_b128 v[236:239], v2 offset:9536                    // 000000006DC4: D9FE2540 EC000002
	ds_read_b32 v22, v3 offset:18432                           // 000000006DCC: D86C4800 16000003
	v_mfma_f32_16x16x32_fp8_fp8 v[108:111], a[94:95], v[222:223], v[108:111]// 000000006DD4: D3F3006C 0DB3BD5E
	s_waitcnt vmcnt(13)                                        // 000000006DDC: BF8C0F7D
	v_mfma_f32_16x16x32_fp8_fp8 v[112:115], a[104:105], v[200:201], 0// 000000006DE0: D3F30070 0A039168
	buffer_load_dwordx4 a[40:43], v46, s[24:27], 0 offen offset:2048// 000000006DE8: E05C1800 8086282E
	v_mfma_f32_16x16x32_fp8_fp8 v[112:115], a[106:107], v[202:203], v[112:115]// 000000006DF0: D3F30070 0DC3956A
	v_mfma_f32_16x16x32_fp8_fp8 v[112:115], a[108:109], v[204:205], v[112:115]// 000000006DF8: D3F30070 0DC3996C
	ds_read_b128 v[240:243], v2 offset:10368                   // 000000006E00: D9FE2880 F0000002
	v_mfma_f32_16x16x32_fp8_fp8 v[112:115], a[110:111], v[206:207], v[112:115]// 000000006E08: D3F30070 0DC39D6E
	v_mfma_f32_16x16x32_fp8_fp8 v[116:119], a[104:105], v[216:217], 0// 000000006E10: D3F30074 0A03B168
	buffer_load_dwordx4 a[44:47], v46, s[24:27], 0 offen offset:3072// 000000006E18: E05C1C00 80862C2E
	v_mfma_f32_16x16x32_fp8_fp8 v[116:119], a[106:107], v[218:219], v[116:119]// 000000006E20: D3F30074 0DD3B56A
	v_mfma_f32_16x16x32_fp8_fp8 v[116:119], a[108:109], v[220:221], v[116:119]// 000000006E28: D3F30074 0DD3B96C
	ds_read_b128 v[244:247], v2 offset:10432                   // 000000006E30: D9FE28C0 F4000002
	v_mfma_f32_16x16x32_fp8_fp8 v[116:119], a[110:111], v[222:223], v[116:119]// 000000006E38: D3F30074 0DD3BD6E
	v_mfma_f32_16x16x32_fp8_fp8 v[120:123], a[120:121], v[200:201], 0// 000000006E40: D3F30078 0A039178
	buffer_load_dwordx4 a[56:59], v47, s[24:27], 0 offen offset:2048// 000000006E48: E05C1800 8086382F
	v_mfma_f32_16x16x32_fp8_fp8 v[120:123], a[122:123], v[202:203], v[120:123]// 000000006E50: D3F30078 0DE3957A
	v_mfma_f32_16x16x32_fp8_fp8 v[120:123], a[124:125], v[204:205], v[120:123]// 000000006E58: D3F30078 0DE3997C
	ds_read_b128 v[248:251], v2 offset:10496                   // 000000006E60: D9FE2900 F8000002
	v_mfma_f32_16x16x32_fp8_fp8 v[120:123], a[126:127], v[206:207], v[120:123]// 000000006E68: D3F30078 0DE39D7E
	v_mfma_f32_16x16x32_fp8_fp8 v[124:127], a[120:121], v[216:217], 0// 000000006E70: D3F3007C 0A03B178
	buffer_load_dwordx4 a[60:63], v47, s[24:27], 0 offen offset:3072// 000000006E78: E05C1C00 80863C2F
	v_mfma_f32_16x16x32_fp8_fp8 v[124:127], a[122:123], v[218:219], v[124:127]// 000000006E80: D3F3007C 0DF3B57A
	v_mfma_f32_16x16x32_fp8_fp8 v[124:127], a[124:125], v[220:221], v[124:127]// 000000006E88: D3F3007C 0DF3B97C
	ds_read_b128 v[252:255], v2 offset:10560                   // 000000006E90: D9FE2940 FC000002
	v_mfma_f32_16x16x32_fp8_fp8 v[124:127], a[126:127], v[222:223], v[124:127]// 000000006E98: D3F3007C 0DF3BD7E
	v_mul_f32_dpp v56, v24, v17 row_newbcast:2 row_mask:0xf bank_mask:0xf// 000000006EA0: 0A7022FA FF015218
	v_mov_b32_e32 v57, v56                                     // 000000006EA8: 7E720338
	v_pk_fma_f32 v[64:65], v[96:97], v[56:57], v[64:65]        // 000000006EAC: D3B04040 1D027160
	v_pk_fma_f32 v[66:67], v[98:99], v[56:57], v[66:67]        // 000000006EB4: D3B04042 1D0A7162
	v_pk_fma_f32 v[72:73], v[104:105], v[56:57], v[72:73]      // 000000006EBC: D3B04048 1D227168
	v_pk_fma_f32 v[74:75], v[106:107], v[56:57], v[74:75]      // 000000006EC4: D3B0404A 1D2A716A
	v_mul_f32_dpp v56, v24, v17 row_newbcast:3 row_mask:0xf bank_mask:0xf// 000000006ECC: 0A7022FA FF015318
	v_mov_b32_e32 v57, v56                                     // 000000006ED4: 7E720338
	v_pk_fma_f32 v[80:81], v[112:113], v[56:57], v[80:81]      // 000000006ED8: D3B04050 1D427170
	v_pk_fma_f32 v[82:83], v[114:115], v[56:57], v[82:83]      // 000000006EE0: D3B04052 1D4A7172
	v_pk_fma_f32 v[88:89], v[120:121], v[56:57], v[88:89]      // 000000006EE8: D3B04058 1D627178
	v_pk_fma_f32 v[90:91], v[122:123], v[56:57], v[90:91]      // 000000006EF0: D3B0405A 1D6A717A
	v_mul_f32_dpp v56, v24, v18 row_newbcast:2 row_mask:0xf bank_mask:0xf// 000000006EF8: 0A7024FA FF015218
	v_mov_b32_e32 v57, v56                                     // 000000006F00: 7E720338
	v_pk_fma_f32 v[68:69], v[100:101], v[56:57], v[68:69]      // 000000006F04: D3B04044 1D127164
	v_pk_fma_f32 v[70:71], v[102:103], v[56:57], v[70:71]      // 000000006F0C: D3B04046 1D1A7166
	v_pk_fma_f32 v[76:77], v[108:109], v[56:57], v[76:77]      // 000000006F14: D3B0404C 1D32716C
	v_pk_fma_f32 v[78:79], v[110:111], v[56:57], v[78:79]      // 000000006F1C: D3B0404E 1D3A716E
	v_mul_f32_dpp v56, v24, v18 row_newbcast:3 row_mask:0xf bank_mask:0xf// 000000006F24: 0A7024FA FF015318
	v_mov_b32_e32 v57, v56                                     // 000000006F2C: 7E720338
	v_pk_fma_f32 v[84:85], v[116:117], v[56:57], v[84:85]      // 000000006F30: D3B04054 1D527174
	v_pk_fma_f32 v[86:87], v[118:119], v[56:57], v[86:87]      // 000000006F38: D3B04056 1D5A7176
	v_pk_fma_f32 v[92:93], v[124:125], v[56:57], v[92:93]      // 000000006F40: D3B0405C 1D72717C
	v_pk_fma_f32 v[94:95], v[126:127], v[56:57], v[94:95]      // 000000006F48: D3B0405E 1D7A717E
	s_add_u32 s60, 0x200, s80                                  // 000000006F50: 803C50FF 00000200
	s_cmp_lt_u32 s60, s81                                      // 000000006F58: BF0A513C
	s_cselect_b32 s57, s57, 0                                  // 000000006F5C: 85398039
	s_cselect_b32 s3, s3, 0                                    // 000000006F60: 85038003
	s_add_u32 s60, 0x200, s80                                  // 000000006F64: 803C50FF 00000200
	s_cmp_lt_u32 s60, s81                                      // 000000006F6C: BF0A513C
	s_cselect_b32 s58, s58, 0                                  // 000000006F70: 853A803A
	s_add_u32 s20, s57, s20                                    // 000000006F74: 80141439
	s_addc_u32 s21, 0, s21                                     // 000000006F78: 82151580
	s_add_u32 s28, s3, s28                                     // 000000006F7C: 801C1C03
	s_addc_u32 s29, 0, s29                                     // 000000006F80: 821D1D80
	s_add_u32 s24, s58, s24                                    // 000000006F84: 8018183A
	s_addc_u32 s25, 0, s25                                     // 000000006F88: 82191980
	s_add_u32 s92, s90, s92                                    // 000000006F8C: 805C5C5A
	s_addc_u32 s93, 0, s93                                     // 000000006F90: 825D5D80
	s_addk_i32 s80, 0x100                                      // 000000006F94: B7500100
	s_cmp_lt_i32 s80, s81                                      // 000000006F98: BF045150
	s_cbranch_scc0 label_12B9                                  // 000000006F9C: BF840251
	s_waitcnt vmcnt(8) lgkmcnt(0)                              // 000000006FA0: BF8C0078
	s_barrier                                                  // 000000006FA4: BF8A0000
	v_mfma_f32_16x16x32_fp8_fp8 v[160:163], a[0:1], v[224:225], 0// 000000006FA8: D3F300A0 0A03C100
	buffer_load_dwordx4 a[64:67], v44, s[92:95], 0 offen       // 000000006FB0: E05C1000 8097402C
	v_mfma_f32_16x16x32_fp8_fp8 v[160:163], a[2:3], v[226:227], v[160:163]// 000000006FB8: D3F300A0 0E83C502
	v_mfma_f32_16x16x32_fp8_fp8 v[160:163], a[4:5], v[228:229], v[160:163]// 000000006FC0: D3F300A0 0E83C904
	buffer_load_dword v36, s[20:23], 0 offen lds               // 000000006FC8: E0511000 80050024
	s_add_u32 m0, 0x100, s50                                   // 000000006FD0: 807C32FF 00000100
	v_mfma_f32_16x16x32_fp8_fp8 v[160:163], a[6:7], v[230:231], v[160:163]// 000000006FD8: D3F300A0 0E83CD06
	v_mfma_f32_16x16x32_fp8_fp8 v[164:167], a[0:1], v[240:241], 0// 000000006FE0: D3F300A4 0A03E100
	buffer_load_dwordx4 a[68:71], v44, s[92:95], 0 offen offset:1024// 000000006FE8: E05C1400 8097442C
	v_mfma_f32_16x16x32_fp8_fp8 v[164:167], a[2:3], v[242:243], v[164:167]// 000000006FF0: D3F300A4 0E93E502
	v_mfma_f32_16x16x32_fp8_fp8 v[164:167], a[4:5], v[244:245], v[164:167]// 000000006FF8: D3F300A4 0E93E904
	buffer_load_dword v37, s[20:23], 0 offen lds               // 000000007000: E0511000 80050025
	s_add_u32 m0, 0x200, s50                                   // 000000007008: 807C32FF 00000200
	v_mfma_f32_16x16x32_fp8_fp8 v[164:167], a[6:7], v[246:247], v[164:167]// 000000007010: D3F300A4 0E93ED06
	v_mfma_f32_16x16x32_fp8_fp8 v[168:171], a[16:17], v[224:225], 0// 000000007018: D3F300A8 0A03C110
	buffer_load_dwordx4 a[80:83], v45, s[92:95], 0 offen       // 000000007020: E05C1000 8097502D
	v_mfma_f32_16x16x32_fp8_fp8 v[168:171], a[18:19], v[226:227], v[168:171]// 000000007028: D3F300A8 0EA3C512
	v_mfma_f32_16x16x32_fp8_fp8 v[168:171], a[20:21], v[228:229], v[168:171]// 000000007030: D3F300A8 0EA3C914
	buffer_load_dword v38, s[20:23], 0 offen lds               // 000000007038: E0511000 80050026
	s_add_u32 m0, 0x300, s50                                   // 000000007040: 807C32FF 00000300
	v_mfma_f32_16x16x32_fp8_fp8 v[168:171], a[22:23], v[230:231], v[168:171]// 000000007048: D3F300A8 0EA3CD16
	v_mfma_f32_16x16x32_fp8_fp8 v[172:175], a[16:17], v[240:241], 0// 000000007050: D3F300AC 0A03E110
	buffer_load_dwordx4 a[84:87], v45, s[92:95], 0 offen offset:1024// 000000007058: E05C1400 8097542D
	v_mfma_f32_16x16x32_fp8_fp8 v[172:175], a[18:19], v[242:243], v[172:175]// 000000007060: D3F300AC 0EB3E512
	v_mfma_f32_16x16x32_fp8_fp8 v[172:175], a[20:21], v[244:245], v[172:175]// 000000007068: D3F300AC 0EB3E914
	buffer_load_dword v39, s[20:23], 0 offen lds               // 000000007070: E0511000 80050027
	s_add_u32 m0, 0x400, s50                                   // 000000007078: 807C32FF 00000400
	v_mfma_f32_16x16x32_fp8_fp8 v[172:175], a[22:23], v[246:247], v[172:175]// 000000007080: D3F300AC 0EB3ED16
	v_mfma_f32_16x16x32_fp8_fp8 v[176:179], a[32:33], v[224:225], 0// 000000007088: D3F300B0 0A03C120
	buffer_load_dwordx4 a[96:99], v46, s[92:95], 0 offen       // 000000007090: E05C1000 8097602E
	v_mfma_f32_16x16x32_fp8_fp8 v[176:179], a[34:35], v[226:227], v[176:179]// 000000007098: D3F300B0 0EC3C522
	v_mfma_f32_16x16x32_fp8_fp8 v[176:179], a[36:37], v[228:229], v[176:179]// 0000000070A0: D3F300B0 0EC3C924
	buffer_load_dword v40, s[20:23], 0 offen lds               // 0000000070A8: E0511000 80050028
	s_add_u32 m0, 0x500, s50                                   // 0000000070B0: 807C32FF 00000500
	v_mfma_f32_16x16x32_fp8_fp8 v[176:179], a[38:39], v[230:231], v[176:179]// 0000000070B8: D3F300B0 0EC3CD26
	v_mfma_f32_16x16x32_fp8_fp8 v[180:183], a[32:33], v[240:241], 0// 0000000070C0: D3F300B4 0A03E120
	buffer_load_dwordx4 a[100:103], v46, s[92:95], 0 offen offset:1024// 0000000070C8: E05C1400 8097642E
	v_mfma_f32_16x16x32_fp8_fp8 v[180:183], a[34:35], v[242:243], v[180:183]// 0000000070D0: D3F300B4 0ED3E522
	v_mfma_f32_16x16x32_fp8_fp8 v[180:183], a[36:37], v[244:245], v[180:183]// 0000000070D8: D3F300B4 0ED3E924
	buffer_load_dword v41, s[20:23], 0 offen lds               // 0000000070E0: E0511000 80050029
	s_add_u32 m0, 0x600, s50                                   // 0000000070E8: 807C32FF 00000600
	v_mfma_f32_16x16x32_fp8_fp8 v[180:183], a[38:39], v[246:247], v[180:183]// 0000000070F0: D3F300B4 0ED3ED26
	v_mfma_f32_16x16x32_fp8_fp8 v[184:187], a[48:49], v[224:225], 0// 0000000070F8: D3F300B8 0A03C130
	buffer_load_dwordx4 a[112:115], v47, s[92:95], 0 offen     // 000000007100: E05C1000 8097702F
	v_mfma_f32_16x16x32_fp8_fp8 v[184:187], a[50:51], v[226:227], v[184:187]// 000000007108: D3F300B8 0EE3C532
	v_mfma_f32_16x16x32_fp8_fp8 v[184:187], a[52:53], v[228:229], v[184:187]// 000000007110: D3F300B8 0EE3C934
	buffer_load_dword v42, s[20:23], 0 offen lds               // 000000007118: E0511000 8005002A
	s_add_u32 m0, 0x700, s50                                   // 000000007120: 807C32FF 00000700
	v_mfma_f32_16x16x32_fp8_fp8 v[184:187], a[54:55], v[230:231], v[184:187]// 000000007128: D3F300B8 0EE3CD36
	v_mfma_f32_16x16x32_fp8_fp8 v[188:191], a[48:49], v[240:241], 0// 000000007130: D3F300BC 0A03E130
	buffer_load_dwordx4 a[116:119], v47, s[92:95], 0 offen offset:1024// 000000007138: E05C1400 8097742F
	v_mfma_f32_16x16x32_fp8_fp8 v[188:191], a[50:51], v[242:243], v[188:191]// 000000007140: D3F300BC 0EF3E532
	v_mfma_f32_16x16x32_fp8_fp8 v[188:191], a[52:53], v[244:245], v[188:191]// 000000007148: D3F300BC 0EF3E934
	buffer_load_dword v43, s[20:23], 0 offen lds               // 000000007150: E0511000 8005002B
	s_add_u32 m0, s50, s76                                     // 000000007158: 807C4C32
	v_mfma_f32_16x16x32_fp8_fp8 v[188:191], a[54:55], v[246:247], v[188:191]// 00000000715C: D3F300BC 0EF3ED36
	buffer_load_dword v7, s[28:31], 0 offen lds                // 000000007164: E0511000 80070007
	s_add_u32 m0, 0, s51                                       // 00000000716C: 807C3380
	buffer_load_dword v24, v13, s[32:35], 0 offen              // 000000007170: E0501000 8008180D
	v_mul_f32_dpp v56, v23, v19 row_newbcast:0 row_mask:0xf bank_mask:0xf// 000000007178: 0A7026FA FF015017
	v_mov_b32_e32 v57, v56                                     // 000000007180: 7E720338
	v_pk_fma_f32 v[128:129], v[160:161], v[56:57], v[128:129]  // 000000007184: D3B04080 1E0271A0
	v_pk_fma_f32 v[130:131], v[162:163], v[56:57], v[130:131]  // 00000000718C: D3B04082 1E0A71A2
	v_pk_fma_f32 v[136:137], v[168:169], v[56:57], v[136:137]  // 000000007194: D3B04088 1E2271A8
	v_pk_fma_f32 v[138:139], v[170:171], v[56:57], v[138:139]  // 00000000719C: D3B0408A 1E2A71AA
	v_mul_f32_dpp v56, v23, v19 row_newbcast:1 row_mask:0xf bank_mask:0xf// 0000000071A4: 0A7026FA FF015117
	v_mov_b32_e32 v57, v56                                     // 0000000071AC: 7E720338
	v_pk_fma_f32 v[144:145], v[176:177], v[56:57], v[144:145]  // 0000000071B0: D3B04090 1E4271B0
	v_pk_fma_f32 v[146:147], v[178:179], v[56:57], v[146:147]  // 0000000071B8: D3B04092 1E4A71B2
	v_pk_fma_f32 v[152:153], v[184:185], v[56:57], v[152:153]  // 0000000071C0: D3B04098 1E6271B8
	v_pk_fma_f32 v[154:155], v[186:187], v[56:57], v[154:155]  // 0000000071C8: D3B0409A 1E6A71BA
	v_mul_f32_dpp v56, v23, v20 row_newbcast:0 row_mask:0xf bank_mask:0xf// 0000000071D0: 0A7028FA FF015017
	v_mov_b32_e32 v57, v56                                     // 0000000071D8: 7E720338
	v_pk_fma_f32 v[132:133], v[164:165], v[56:57], v[132:133]  // 0000000071DC: D3B04084 1E1271A4
	v_pk_fma_f32 v[134:135], v[166:167], v[56:57], v[134:135]  // 0000000071E4: D3B04086 1E1A71A6
	v_pk_fma_f32 v[140:141], v[172:173], v[56:57], v[140:141]  // 0000000071EC: D3B0408C 1E3271AC
	v_pk_fma_f32 v[142:143], v[174:175], v[56:57], v[142:143]  // 0000000071F4: D3B0408E 1E3A71AE
	v_mul_f32_dpp v56, v23, v20 row_newbcast:1 row_mask:0xf bank_mask:0xf// 0000000071FC: 0A7028FA FF015117
	v_mov_b32_e32 v57, v56                                     // 000000007204: 7E720338
	v_pk_fma_f32 v[148:149], v[180:181], v[56:57], v[148:149]  // 000000007208: D3B04094 1E5271B4
	v_pk_fma_f32 v[150:151], v[182:183], v[56:57], v[150:151]  // 000000007210: D3B04096 1E5A71B6
	v_pk_fma_f32 v[156:157], v[188:189], v[56:57], v[156:157]  // 000000007218: D3B0409C 1E7271BC
	v_pk_fma_f32 v[158:159], v[190:191], v[56:57], v[158:159]  // 000000007220: D3B0409E 1E7A71BE
	s_waitcnt vmcnt(22)                                        // 000000007228: BF8C4F76
	v_mfma_f32_16x16x32_fp8_fp8 v[160:163], a[8:9], v[232:233], 0// 00000000722C: D3F300A0 0A03D108
	buffer_load_dwordx4 a[72:75], v44, s[92:95], 0 offen offset:2048// 000000007234: E05C1800 8097482C
	v_mfma_f32_16x16x32_fp8_fp8 v[160:163], a[10:11], v[234:235], v[160:163]// 00000000723C: D3F300A0 0E83D50A
	v_mfma_f32_16x16x32_fp8_fp8 v[160:163], a[12:13], v[236:237], v[160:163]// 000000007244: D3F300A0 0E83D90C
	v_mfma_f32_16x16x32_fp8_fp8 v[160:163], a[14:15], v[238:239], v[160:163]// 00000000724C: D3F300A0 0E83DD0E
	v_mfma_f32_16x16x32_fp8_fp8 v[164:167], a[8:9], v[248:249], 0// 000000007254: D3F300A4 0A03F108
	buffer_load_dwordx4 a[76:79], v44, s[92:95], 0 offen offset:3072// 00000000725C: E05C1C00 80974C2C
	v_mfma_f32_16x16x32_fp8_fp8 v[164:167], a[10:11], v[250:251], v[164:167]// 000000007264: D3F300A4 0E93F50A
	v_mfma_f32_16x16x32_fp8_fp8 v[164:167], a[12:13], v[252:253], v[164:167]// 00000000726C: D3F300A4 0E93F90C
	v_mfma_f32_16x16x32_fp8_fp8 v[164:167], a[14:15], v[254:255], v[164:167]// 000000007274: D3F300A4 0E93FD0E
	v_mfma_f32_16x16x32_fp8_fp8 v[168:171], a[24:25], v[232:233], 0// 00000000727C: D3F300A8 0A03D118
	buffer_load_dwordx4 a[88:91], v45, s[92:95], 0 offen offset:2048// 000000007284: E05C1800 8097582D
	v_mfma_f32_16x16x32_fp8_fp8 v[168:171], a[26:27], v[234:235], v[168:171]// 00000000728C: D3F300A8 0EA3D51A
	v_mfma_f32_16x16x32_fp8_fp8 v[168:171], a[28:29], v[236:237], v[168:171]// 000000007294: D3F300A8 0EA3D91C
	v_mfma_f32_16x16x32_fp8_fp8 v[168:171], a[30:31], v[238:239], v[168:171]// 00000000729C: D3F300A8 0EA3DD1E
	v_mfma_f32_16x16x32_fp8_fp8 v[172:175], a[24:25], v[248:249], 0// 0000000072A4: D3F300AC 0A03F118
	buffer_load_dwordx4 a[92:95], v45, s[92:95], 0 offen offset:3072// 0000000072AC: E05C1C00 80975C2D
	v_mfma_f32_16x16x32_fp8_fp8 v[172:175], a[26:27], v[250:251], v[172:175]// 0000000072B4: D3F300AC 0EB3F51A
	v_mfma_f32_16x16x32_fp8_fp8 v[172:175], a[28:29], v[252:253], v[172:175]// 0000000072BC: D3F300AC 0EB3F91C
	v_mfma_f32_16x16x32_fp8_fp8 v[172:175], a[30:31], v[254:255], v[172:175]// 0000000072C4: D3F300AC 0EB3FD1E
	s_waitcnt vmcnt(22)                                        // 0000000072CC: BF8C4F76
	v_mfma_f32_16x16x32_fp8_fp8 v[176:179], a[40:41], v[232:233], 0// 0000000072D0: D3F300B0 0A03D128
	buffer_load_dwordx4 a[104:107], v46, s[92:95], 0 offen offset:2048// 0000000072D8: E05C1800 8097682E
	v_mfma_f32_16x16x32_fp8_fp8 v[176:179], a[42:43], v[234:235], v[176:179]// 0000000072E0: D3F300B0 0EC3D52A
	v_mfma_f32_16x16x32_fp8_fp8 v[176:179], a[44:45], v[236:237], v[176:179]// 0000000072E8: D3F300B0 0EC3D92C
	v_mfma_f32_16x16x32_fp8_fp8 v[176:179], a[46:47], v[238:239], v[176:179]// 0000000072F0: D3F300B0 0EC3DD2E
	v_mfma_f32_16x16x32_fp8_fp8 v[180:183], a[40:41], v[248:249], 0// 0000000072F8: D3F300B4 0A03F128
	buffer_load_dwordx4 a[108:111], v46, s[92:95], 0 offen offset:3072// 000000007300: E05C1C00 80976C2E
	v_mfma_f32_16x16x32_fp8_fp8 v[180:183], a[42:43], v[250:251], v[180:183]// 000000007308: D3F300B4 0ED3F52A
	v_mfma_f32_16x16x32_fp8_fp8 v[180:183], a[44:45], v[252:253], v[180:183]// 000000007310: D3F300B4 0ED3F92C
	v_mfma_f32_16x16x32_fp8_fp8 v[180:183], a[46:47], v[254:255], v[180:183]// 000000007318: D3F300B4 0ED3FD2E
	v_mfma_f32_16x16x32_fp8_fp8 v[184:187], a[56:57], v[232:233], 0// 000000007320: D3F300B8 0A03D138
	buffer_load_dwordx4 a[120:123], v47, s[92:95], 0 offen offset:2048// 000000007328: E05C1800 8097782F
	v_mfma_f32_16x16x32_fp8_fp8 v[184:187], a[58:59], v[234:235], v[184:187]// 000000007330: D3F300B8 0EE3D53A
	v_mfma_f32_16x16x32_fp8_fp8 v[184:187], a[60:61], v[236:237], v[184:187]// 000000007338: D3F300B8 0EE3D93C
	v_mfma_f32_16x16x32_fp8_fp8 v[184:187], a[62:63], v[238:239], v[184:187]// 000000007340: D3F300B8 0EE3DD3E
	v_mfma_f32_16x16x32_fp8_fp8 v[188:191], a[56:57], v[248:249], 0// 000000007348: D3F300BC 0A03F138
	buffer_load_dwordx4 a[124:127], v47, s[92:95], 0 offen offset:3072// 000000007350: E05C1C00 80977C2F
	v_mfma_f32_16x16x32_fp8_fp8 v[188:191], a[58:59], v[250:251], v[188:191]// 000000007358: D3F300BC 0EF3F53A
	v_mfma_f32_16x16x32_fp8_fp8 v[188:191], a[60:61], v[252:253], v[188:191]// 000000007360: D3F300BC 0EF3F93C
	v_mfma_f32_16x16x32_fp8_fp8 v[188:191], a[62:63], v[254:255], v[188:191]// 000000007368: D3F300BC 0EF3FD3E
	v_mul_f32_dpp v56, v23, v21 row_newbcast:2 row_mask:0xf bank_mask:0xf// 000000007370: 0A702AFA FF015217
	v_mov_b32_e32 v57, v56                                     // 000000007378: 7E720338
	v_pk_fma_f32 v[128:129], v[160:161], v[56:57], v[128:129]  // 00000000737C: D3B04080 1E0271A0
	v_pk_fma_f32 v[130:131], v[162:163], v[56:57], v[130:131]  // 000000007384: D3B04082 1E0A71A2
	v_pk_fma_f32 v[136:137], v[168:169], v[56:57], v[136:137]  // 00000000738C: D3B04088 1E2271A8
	v_pk_fma_f32 v[138:139], v[170:171], v[56:57], v[138:139]  // 000000007394: D3B0408A 1E2A71AA
	v_mul_f32_dpp v56, v23, v21 row_newbcast:3 row_mask:0xf bank_mask:0xf// 00000000739C: 0A702AFA FF015317
	v_mov_b32_e32 v57, v56                                     // 0000000073A4: 7E720338
	v_pk_fma_f32 v[144:145], v[176:177], v[56:57], v[144:145]  // 0000000073A8: D3B04090 1E4271B0
	v_pk_fma_f32 v[146:147], v[178:179], v[56:57], v[146:147]  // 0000000073B0: D3B04092 1E4A71B2
	v_pk_fma_f32 v[152:153], v[184:185], v[56:57], v[152:153]  // 0000000073B8: D3B04098 1E6271B8
	v_pk_fma_f32 v[154:155], v[186:187], v[56:57], v[154:155]  // 0000000073C0: D3B0409A 1E6A71BA
	v_mul_f32_dpp v56, v23, v22 row_newbcast:2 row_mask:0xf bank_mask:0xf// 0000000073C8: 0A702CFA FF015217
	v_mov_b32_e32 v57, v56                                     // 0000000073D0: 7E720338
	v_pk_fma_f32 v[132:133], v[164:165], v[56:57], v[132:133]  // 0000000073D4: D3B04084 1E1271A4
	v_pk_fma_f32 v[134:135], v[166:167], v[56:57], v[134:135]  // 0000000073DC: D3B04086 1E1A71A6
	v_pk_fma_f32 v[140:141], v[172:173], v[56:57], v[140:141]  // 0000000073E4: D3B0408C 1E3271AC
	v_pk_fma_f32 v[142:143], v[174:175], v[56:57], v[142:143]  // 0000000073EC: D3B0408E 1E3A71AE
	v_mul_f32_dpp v56, v23, v22 row_newbcast:3 row_mask:0xf bank_mask:0xf// 0000000073F4: 0A702CFA FF015317
	v_mov_b32_e32 v57, v56                                     // 0000000073FC: 7E720338
	v_pk_fma_f32 v[148:149], v[180:181], v[56:57], v[148:149]  // 000000007400: D3B04094 1E5271B4
	v_pk_fma_f32 v[150:151], v[182:183], v[56:57], v[150:151]  // 000000007408: D3B04096 1E5A71B6
	v_pk_fma_f32 v[156:157], v[188:189], v[56:57], v[156:157]  // 000000007410: D3B0409C 1E7271BC
	v_pk_fma_f32 v[158:159], v[190:191], v[56:57], v[158:159]  // 000000007418: D3B0409E 1E7A71BE
	s_add_u32 s60, 0x100, s80                                  // 000000007420: 803C50FF 00000100
	s_cmp_lt_u32 s60, s81                                      // 000000007428: BF0A513C
	s_cselect_b32 s4, s4, 0                                    // 00000000742C: 85048004
	s_add_u32 s32, s4, s32                                     // 000000007430: 80202004
	s_addc_u32 s33, 0, s33                                     // 000000007434: 82212180
	s_waitcnt vmcnt(8)                                         // 000000007438: BF8C0F78
	s_barrier                                                  // 00000000743C: BF8A0000
	v_mfma_f32_16x16x32_fp8_fp8 v[96:99], a[64:65], v[224:225], 0// 000000007440: D3F30060 0A03C140
	buffer_load_dwordx4 a[0:3], v44, s[24:27], 0 offen         // 000000007448: E05C1000 8086002C
	v_mfma_f32_16x16x32_fp8_fp8 v[96:99], a[66:67], v[226:227], v[96:99]// 000000007450: D3F30060 0D83C542
	v_mfma_f32_16x16x32_fp8_fp8 v[96:99], a[68:69], v[228:229], v[96:99]// 000000007458: D3F30060 0D83C944
	buffer_load_dword v23, v11, s[32:35], 0 offen              // 000000007460: E0501000 8008170B
	v_mfma_f32_16x16x32_fp8_fp8 v[96:99], a[70:71], v[230:231], v[96:99]// 000000007468: D3F30060 0D83CD46
	v_mfma_f32_16x16x32_fp8_fp8 v[100:103], a[64:65], v[240:241], 0// 000000007470: D3F30064 0A03E140
	buffer_load_dwordx4 a[4:7], v44, s[24:27], 0 offen offset:1024// 000000007478: E05C1400 8086042C
	v_mfma_f32_16x16x32_fp8_fp8 v[100:103], a[66:67], v[242:243], v[100:103]// 000000007480: D3F30064 0D93E542
	v_mfma_f32_16x16x32_fp8_fp8 v[100:103], a[68:69], v[244:245], v[100:103]// 000000007488: D3F30064 0D93E944
	v_mfma_f32_16x16x32_fp8_fp8 v[100:103], a[70:71], v[246:247], v[100:103]// 000000007490: D3F30064 0D93ED46
	v_mfma_f32_16x16x32_fp8_fp8 v[104:107], a[80:81], v[224:225], 0// 000000007498: D3F30068 0A03C150
	buffer_load_dwordx4 a[16:19], v45, s[24:27], 0 offen       // 0000000074A0: E05C1000 8086102D
	v_mfma_f32_16x16x32_fp8_fp8 v[104:107], a[82:83], v[226:227], v[104:107]// 0000000074A8: D3F30068 0DA3C552
	v_mfma_f32_16x16x32_fp8_fp8 v[104:107], a[84:85], v[228:229], v[104:107]// 0000000074B0: D3F30068 0DA3C954
	v_mfma_f32_16x16x32_fp8_fp8 v[104:107], a[86:87], v[230:231], v[104:107]// 0000000074B8: D3F30068 0DA3CD56
	v_mfma_f32_16x16x32_fp8_fp8 v[108:111], a[80:81], v[240:241], 0// 0000000074C0: D3F3006C 0A03E150
	buffer_load_dwordx4 a[20:23], v45, s[24:27], 0 offen offset:1024// 0000000074C8: E05C1400 8086142D
	v_mfma_f32_16x16x32_fp8_fp8 v[108:111], a[82:83], v[242:243], v[108:111]// 0000000074D0: D3F3006C 0DB3E552
	v_mfma_f32_16x16x32_fp8_fp8 v[108:111], a[84:85], v[244:245], v[108:111]// 0000000074D8: D3F3006C 0DB3E954
	v_mfma_f32_16x16x32_fp8_fp8 v[108:111], a[86:87], v[246:247], v[108:111]// 0000000074E0: D3F3006C 0DB3ED56
	v_mfma_f32_16x16x32_fp8_fp8 v[112:115], a[96:97], v[224:225], 0// 0000000074E8: D3F30070 0A03C160
	buffer_load_dwordx4 a[32:35], v46, s[24:27], 0 offen       // 0000000074F0: E05C1000 8086202E
	v_mfma_f32_16x16x32_fp8_fp8 v[112:115], a[98:99], v[226:227], v[112:115]// 0000000074F8: D3F30070 0DC3C562
	v_mfma_f32_16x16x32_fp8_fp8 v[112:115], a[100:101], v[228:229], v[112:115]// 000000007500: D3F30070 0DC3C964
	v_mfma_f32_16x16x32_fp8_fp8 v[112:115], a[102:103], v[230:231], v[112:115]// 000000007508: D3F30070 0DC3CD66
	v_mfma_f32_16x16x32_fp8_fp8 v[116:119], a[96:97], v[240:241], 0// 000000007510: D3F30074 0A03E160
	buffer_load_dwordx4 a[36:39], v46, s[24:27], 0 offen offset:1024// 000000007518: E05C1400 8086242E
	v_mfma_f32_16x16x32_fp8_fp8 v[116:119], a[98:99], v[242:243], v[116:119]// 000000007520: D3F30074 0DD3E562
	v_mfma_f32_16x16x32_fp8_fp8 v[116:119], a[100:101], v[244:245], v[116:119]// 000000007528: D3F30074 0DD3E964
	v_mfma_f32_16x16x32_fp8_fp8 v[116:119], a[102:103], v[246:247], v[116:119]// 000000007530: D3F30074 0DD3ED66
	v_mfma_f32_16x16x32_fp8_fp8 v[120:123], a[112:113], v[224:225], 0// 000000007538: D3F30078 0A03C170
	buffer_load_dwordx4 a[48:51], v47, s[24:27], 0 offen       // 000000007540: E05C1000 8086302F
	v_mfma_f32_16x16x32_fp8_fp8 v[120:123], a[114:115], v[226:227], v[120:123]// 000000007548: D3F30078 0DE3C572
	v_mfma_f32_16x16x32_fp8_fp8 v[120:123], a[116:117], v[228:229], v[120:123]// 000000007550: D3F30078 0DE3C974
	v_mfma_f32_16x16x32_fp8_fp8 v[120:123], a[118:119], v[230:231], v[120:123]// 000000007558: D3F30078 0DE3CD76
	v_mfma_f32_16x16x32_fp8_fp8 v[124:127], a[112:113], v[240:241], 0// 000000007560: D3F3007C 0A03E170
	buffer_load_dwordx4 a[52:55], v47, s[24:27], 0 offen offset:1024// 000000007568: E05C1400 8086342F
	v_mfma_f32_16x16x32_fp8_fp8 v[124:127], a[114:115], v[242:243], v[124:127]// 000000007570: D3F3007C 0DF3E572
	v_mfma_f32_16x16x32_fp8_fp8 v[124:127], a[116:117], v[244:245], v[124:127]// 000000007578: D3F3007C 0DF3E974
	v_mfma_f32_16x16x32_fp8_fp8 v[124:127], a[118:119], v[246:247], v[124:127]// 000000007580: D3F3007C 0DF3ED76
	v_mul_f32_dpp v56, v24, v19 row_newbcast:0 row_mask:0xf bank_mask:0xf// 000000007588: 0A7026FA FF015018
	v_mov_b32_e32 v57, v56                                     // 000000007590: 7E720338
	v_pk_fma_f32 v[64:65], v[96:97], v[56:57], v[64:65]        // 000000007594: D3B04040 1D027160
	v_pk_fma_f32 v[66:67], v[98:99], v[56:57], v[66:67]        // 00000000759C: D3B04042 1D0A7162
	v_pk_fma_f32 v[72:73], v[104:105], v[56:57], v[72:73]      // 0000000075A4: D3B04048 1D227168
	v_pk_fma_f32 v[74:75], v[106:107], v[56:57], v[74:75]      // 0000000075AC: D3B0404A 1D2A716A
	v_mul_f32_dpp v56, v24, v19 row_newbcast:1 row_mask:0xf bank_mask:0xf// 0000000075B4: 0A7026FA FF015118
	v_mov_b32_e32 v57, v56                                     // 0000000075BC: 7E720338
	v_pk_fma_f32 v[80:81], v[112:113], v[56:57], v[80:81]      // 0000000075C0: D3B04050 1D427170
	v_pk_fma_f32 v[82:83], v[114:115], v[56:57], v[82:83]      // 0000000075C8: D3B04052 1D4A7172
	v_pk_fma_f32 v[88:89], v[120:121], v[56:57], v[88:89]      // 0000000075D0: D3B04058 1D627178
	v_pk_fma_f32 v[90:91], v[122:123], v[56:57], v[90:91]      // 0000000075D8: D3B0405A 1D6A717A
	v_mul_f32_dpp v56, v24, v20 row_newbcast:0 row_mask:0xf bank_mask:0xf// 0000000075E0: 0A7028FA FF015018
	v_mov_b32_e32 v57, v56                                     // 0000000075E8: 7E720338
	v_pk_fma_f32 v[68:69], v[100:101], v[56:57], v[68:69]      // 0000000075EC: D3B04044 1D127164
	v_pk_fma_f32 v[70:71], v[102:103], v[56:57], v[70:71]      // 0000000075F4: D3B04046 1D1A7166
	v_pk_fma_f32 v[76:77], v[108:109], v[56:57], v[76:77]      // 0000000075FC: D3B0404C 1D32716C
	v_pk_fma_f32 v[78:79], v[110:111], v[56:57], v[78:79]      // 000000007604: D3B0404E 1D3A716E
	v_mul_f32_dpp v56, v24, v20 row_newbcast:1 row_mask:0xf bank_mask:0xf// 00000000760C: 0A7028FA FF015118
	v_mov_b32_e32 v57, v56                                     // 000000007614: 7E720338
	v_pk_fma_f32 v[84:85], v[116:117], v[56:57], v[84:85]      // 000000007618: D3B04054 1D527174
	v_pk_fma_f32 v[86:87], v[118:119], v[56:57], v[86:87]      // 000000007620: D3B04056 1D5A7176
	v_pk_fma_f32 v[92:93], v[124:125], v[56:57], v[92:93]      // 000000007628: D3B0405C 1D72717C
	v_pk_fma_f32 v[94:95], v[126:127], v[56:57], v[94:95]      // 000000007630: D3B0405E 1D7A717E
	s_waitcnt vmcnt(13)                                        // 000000007638: BF8C0F7D
	v_mfma_f32_16x16x32_fp8_fp8 v[96:99], a[72:73], v[232:233], 0// 00000000763C: D3F30060 0A03D148
	buffer_load_dwordx4 a[8:11], v44, s[24:27], 0 offen offset:2048// 000000007644: E05C1800 8086082C
	v_mfma_f32_16x16x32_fp8_fp8 v[96:99], a[74:75], v[234:235], v[96:99]// 00000000764C: D3F30060 0D83D54A
	v_mfma_f32_16x16x32_fp8_fp8 v[96:99], a[76:77], v[236:237], v[96:99]// 000000007654: D3F30060 0D83D94C
	ds_read_b128 v[192:195], v2                                // 00000000765C: D9FE0000 C0000002
	ds_read_b32 v15, v3 offset:8320                            // 000000007664: D86C2080 0F000003
	v_mfma_f32_16x16x32_fp8_fp8 v[96:99], a[78:79], v[238:239], v[96:99]// 00000000766C: D3F30060 0D83DD4E
	v_mfma_f32_16x16x32_fp8_fp8 v[100:103], a[72:73], v[248:249], 0// 000000007674: D3F30064 0A03F148
	buffer_load_dwordx4 a[12:15], v44, s[24:27], 0 offen offset:3072// 00000000767C: E05C1C00 80860C2C
	v_mfma_f32_16x16x32_fp8_fp8 v[100:103], a[74:75], v[250:251], v[100:103]// 000000007684: D3F30064 0D93F54A
	v_mfma_f32_16x16x32_fp8_fp8 v[100:103], a[76:77], v[252:253], v[100:103]// 00000000768C: D3F30064 0D93F94C
	ds_read_b128 v[196:199], v2 offset:64                      // 000000007694: D9FE0040 C4000002
	ds_read_b32 v16, v3 offset:8576                            // 00000000769C: D86C2180 10000003
	v_mfma_f32_16x16x32_fp8_fp8 v[100:103], a[78:79], v[254:255], v[100:103]// 0000000076A4: D3F30064 0D93FD4E
	v_mfma_f32_16x16x32_fp8_fp8 v[104:107], a[88:89], v[232:233], 0// 0000000076AC: D3F30068 0A03D158
	buffer_load_dwordx4 a[24:27], v45, s[24:27], 0 offen offset:2048// 0000000076B4: E05C1800 8086182D
	v_mfma_f32_16x16x32_fp8_fp8 v[104:107], a[90:91], v[234:235], v[104:107]// 0000000076BC: D3F30068 0DA3D55A
	v_mfma_f32_16x16x32_fp8_fp8 v[104:107], a[92:93], v[236:237], v[104:107]// 0000000076C4: D3F30068 0DA3D95C
	ds_read_b128 v[200:203], v2 offset:128                     // 0000000076CC: D9FE0080 C8000002
	ds_read_b32 v17, v3 offset:8832                            // 0000000076D4: D86C2280 11000003
	v_mfma_f32_16x16x32_fp8_fp8 v[104:107], a[94:95], v[238:239], v[104:107]// 0000000076DC: D3F30068 0DA3DD5E
	v_mfma_f32_16x16x32_fp8_fp8 v[108:111], a[88:89], v[248:249], 0// 0000000076E4: D3F3006C 0A03F158
	buffer_load_dwordx4 a[28:31], v45, s[24:27], 0 offen offset:3072// 0000000076EC: E05C1C00 80861C2D
	v_mfma_f32_16x16x32_fp8_fp8 v[108:111], a[90:91], v[250:251], v[108:111]// 0000000076F4: D3F3006C 0DB3F55A
	v_mfma_f32_16x16x32_fp8_fp8 v[108:111], a[92:93], v[252:253], v[108:111]// 0000000076FC: D3F3006C 0DB3F95C
	ds_read_b128 v[204:207], v2 offset:192                     // 000000007704: D9FE00C0 CC000002
	ds_read_b32 v18, v3 offset:9088                            // 00000000770C: D86C2380 12000003
	v_mfma_f32_16x16x32_fp8_fp8 v[108:111], a[94:95], v[254:255], v[108:111]// 000000007714: D3F3006C 0DB3FD5E
	s_waitcnt vmcnt(13)                                        // 00000000771C: BF8C0F7D
	v_mfma_f32_16x16x32_fp8_fp8 v[112:115], a[104:105], v[232:233], 0// 000000007720: D3F30070 0A03D168
	buffer_load_dwordx4 a[40:43], v46, s[24:27], 0 offen offset:2048// 000000007728: E05C1800 8086282E
	v_mfma_f32_16x16x32_fp8_fp8 v[112:115], a[106:107], v[234:235], v[112:115]// 000000007730: D3F30070 0DC3D56A
	v_mfma_f32_16x16x32_fp8_fp8 v[112:115], a[108:109], v[236:237], v[112:115]// 000000007738: D3F30070 0DC3D96C
	ds_read_b128 v[208:211], v2 offset:1024                    // 000000007740: D9FE0400 D0000002
	v_mfma_f32_16x16x32_fp8_fp8 v[112:115], a[110:111], v[238:239], v[112:115]// 000000007748: D3F30070 0DC3DD6E
	v_mfma_f32_16x16x32_fp8_fp8 v[116:119], a[104:105], v[248:249], 0// 000000007750: D3F30074 0A03F168
	buffer_load_dwordx4 a[44:47], v46, s[24:27], 0 offen offset:3072// 000000007758: E05C1C00 80862C2E
	v_mfma_f32_16x16x32_fp8_fp8 v[116:119], a[106:107], v[250:251], v[116:119]// 000000007760: D3F30074 0DD3F56A
	v_mfma_f32_16x16x32_fp8_fp8 v[116:119], a[108:109], v[252:253], v[116:119]// 000000007768: D3F30074 0DD3F96C
	ds_read_b128 v[212:215], v2 offset:1088                    // 000000007770: D9FE0440 D4000002
	v_mfma_f32_16x16x32_fp8_fp8 v[116:119], a[110:111], v[254:255], v[116:119]// 000000007778: D3F30074 0DD3FD6E
	v_mfma_f32_16x16x32_fp8_fp8 v[120:123], a[120:121], v[232:233], 0// 000000007780: D3F30078 0A03D178
	buffer_load_dwordx4 a[56:59], v47, s[24:27], 0 offen offset:2048// 000000007788: E05C1800 8086382F
	v_mfma_f32_16x16x32_fp8_fp8 v[120:123], a[122:123], v[234:235], v[120:123]// 000000007790: D3F30078 0DE3D57A
	v_mfma_f32_16x16x32_fp8_fp8 v[120:123], a[124:125], v[236:237], v[120:123]// 000000007798: D3F30078 0DE3D97C
	ds_read_b128 v[216:219], v2 offset:1152                    // 0000000077A0: D9FE0480 D8000002
	v_mfma_f32_16x16x32_fp8_fp8 v[120:123], a[126:127], v[238:239], v[120:123]// 0000000077A8: D3F30078 0DE3DD7E
	v_mfma_f32_16x16x32_fp8_fp8 v[124:127], a[120:121], v[248:249], 0// 0000000077B0: D3F3007C 0A03F178
	buffer_load_dwordx4 a[60:63], v47, s[24:27], 0 offen offset:3072// 0000000077B8: E05C1C00 80863C2F
	v_mfma_f32_16x16x32_fp8_fp8 v[124:127], a[122:123], v[250:251], v[124:127]// 0000000077C0: D3F3007C 0DF3F57A
	v_mfma_f32_16x16x32_fp8_fp8 v[124:127], a[124:125], v[252:253], v[124:127]// 0000000077C8: D3F3007C 0DF3F97C
	ds_read_b128 v[220:223], v2 offset:1216                    // 0000000077D0: D9FE04C0 DC000002
	v_mfma_f32_16x16x32_fp8_fp8 v[124:127], a[126:127], v[254:255], v[124:127]// 0000000077D8: D3F3007C 0DF3FD7E
	v_mul_f32_dpp v56, v24, v21 row_newbcast:2 row_mask:0xf bank_mask:0xf// 0000000077E0: 0A702AFA FF015218
	v_mov_b32_e32 v57, v56                                     // 0000000077E8: 7E720338
	v_pk_fma_f32 v[64:65], v[96:97], v[56:57], v[64:65]        // 0000000077EC: D3B04040 1D027160
	v_pk_fma_f32 v[66:67], v[98:99], v[56:57], v[66:67]        // 0000000077F4: D3B04042 1D0A7162
	v_pk_fma_f32 v[72:73], v[104:105], v[56:57], v[72:73]      // 0000000077FC: D3B04048 1D227168
	v_pk_fma_f32 v[74:75], v[106:107], v[56:57], v[74:75]      // 000000007804: D3B0404A 1D2A716A
	v_mul_f32_dpp v56, v24, v21 row_newbcast:3 row_mask:0xf bank_mask:0xf// 00000000780C: 0A702AFA FF015318
	v_mov_b32_e32 v57, v56                                     // 000000007814: 7E720338
	v_pk_fma_f32 v[80:81], v[112:113], v[56:57], v[80:81]      // 000000007818: D3B04050 1D427170
	v_pk_fma_f32 v[82:83], v[114:115], v[56:57], v[82:83]      // 000000007820: D3B04052 1D4A7172
	v_pk_fma_f32 v[88:89], v[120:121], v[56:57], v[88:89]      // 000000007828: D3B04058 1D627178
	v_pk_fma_f32 v[90:91], v[122:123], v[56:57], v[90:91]      // 000000007830: D3B0405A 1D6A717A
	v_mul_f32_dpp v56, v24, v22 row_newbcast:2 row_mask:0xf bank_mask:0xf// 000000007838: 0A702CFA FF015218
	v_mov_b32_e32 v57, v56                                     // 000000007840: 7E720338
	v_pk_fma_f32 v[68:69], v[100:101], v[56:57], v[68:69]      // 000000007844: D3B04044 1D127164
	v_pk_fma_f32 v[70:71], v[102:103], v[56:57], v[70:71]      // 00000000784C: D3B04046 1D1A7166
	v_pk_fma_f32 v[76:77], v[108:109], v[56:57], v[76:77]      // 000000007854: D3B0404C 1D32716C
	v_pk_fma_f32 v[78:79], v[110:111], v[56:57], v[78:79]      // 00000000785C: D3B0404E 1D3A716E
	v_mul_f32_dpp v56, v24, v22 row_newbcast:3 row_mask:0xf bank_mask:0xf// 000000007864: 0A702CFA FF015318
	v_mov_b32_e32 v57, v56                                     // 00000000786C: 7E720338
	v_pk_fma_f32 v[84:85], v[116:117], v[56:57], v[84:85]      // 000000007870: D3B04054 1D527174
	v_pk_fma_f32 v[86:87], v[118:119], v[56:57], v[86:87]      // 000000007878: D3B04056 1D5A7176
	v_pk_fma_f32 v[92:93], v[124:125], v[56:57], v[92:93]      // 000000007880: D3B0405C 1D72717C
	v_pk_fma_f32 v[94:95], v[126:127], v[56:57], v[94:95]      // 000000007888: D3B0405E 1D7A717E
	s_add_u32 s60, 0x200, s80                                  // 000000007890: 803C50FF 00000200
	s_cmp_lt_u32 s60, s81                                      // 000000007898: BF0A513C
	s_cselect_b32 s57, s57, 0                                  // 00000000789C: 85398039
	s_cselect_b32 s3, s3, 0                                    // 0000000078A0: 85038003
	s_add_u32 s60, 0x200, s80                                  // 0000000078A4: 803C50FF 00000200
	s_cmp_lt_u32 s60, s81                                      // 0000000078AC: BF0A513C
	s_cselect_b32 s58, s58, 0                                  // 0000000078B0: 853A803A
	s_add_u32 s20, s57, s20                                    // 0000000078B4: 80141439
	s_addc_u32 s21, 0, s21                                     // 0000000078B8: 82151580
	s_add_u32 s28, s3, s28                                     // 0000000078BC: 801C1C03
	s_addc_u32 s29, 0, s29                                     // 0000000078C0: 821D1D80
	s_add_u32 s24, s58, s24                                    // 0000000078C4: 8018183A
	s_addc_u32 s25, 0, s25                                     // 0000000078C8: 82191980
	s_add_u32 s92, s90, s92                                    // 0000000078CC: 805C5C5A
	s_addc_u32 s93, 0, s93                                     // 0000000078D0: 825D5D80
	s_addk_i32 s80, 0x100                                      // 0000000078D4: B7500100
	s_cmp_lt_i32 s80, s81                                      // 0000000078D8: BF045150
	s_cbranch_scc0 label_12B9                                  // 0000000078DC: BF840001
	s_branch label_0E18                                        // 0000000078E0: BF82FB5F

00000000000078e4 <label_12B9>:
	s_mov_b32 s36, -1                                          // 0000000078E4: BEA400C1
	s_mov_b32 s37, -1                                          // 0000000078E8: BEA500C1
	s_mov_b64 s[60:61], 0                                      // 0000000078EC: BEBC0180
	s_cmp_lt_u32 s82, s66                                      // 0000000078F0: BF0A4252
	s_cselect_b64 s[20:21], s[36:37], s[60:61]                 // 0000000078F4: 85943C24
	s_cmp_lt_u32 s83, s66                                      // 0000000078F8: BF0A4253
	s_cselect_b64 s[22:23], s[36:37], s[60:61]                 // 0000000078FC: 85963C24
	s_cmp_lt_u32 s84, s66                                      // 000000007900: BF0A4254
	s_cselect_b64 s[24:25], s[36:37], s[60:61]                 // 000000007904: 85983C24
	s_cmp_lt_u32 s85, s66                                      // 000000007908: BF0A4255
	s_cselect_b64 s[26:27], s[36:37], s[60:61]                 // 00000000790C: 859A3C24
	s_cmp_lt_u32 s86, s66                                      // 000000007910: BF0A4256
	s_cselect_b64 s[28:29], s[36:37], s[60:61]                 // 000000007914: 859C3C24
	s_cmp_lt_u32 s87, s66                                      // 000000007918: BF0A4257
	s_cselect_b64 s[30:31], s[36:37], s[60:61]                 // 00000000791C: 859E3C24
	s_cmp_lt_u32 s88, s66                                      // 000000007920: BF0A4258
	s_cselect_b64 s[32:33], s[36:37], s[60:61]                 // 000000007924: 85A03C24
	s_cmp_lt_u32 s89, s66                                      // 000000007928: BF0A4259
	s_cselect_b64 s[34:35], s[36:37], s[60:61]                 // 00000000792C: 85A23C24
	s_waitcnt vmcnt(12)                                        // 000000007930: BF8C0F7C
	buffer_load_dwordx4 a[0:3], v48, s[12:15], 0 offen         // 000000007934: E05C1000 80830030
	v_mul_f32_e64 v56, -v128, s6                               // 00000000793C: D1050038 20000D80
	v_mul_f32_e64 v57, -v129, s6                               // 000000007944: D1050039 20000D81
	v_mul_f32_e64 v58, -v130, s6                               // 00000000794C: D105003A 20000D82
	v_mul_f32_e64 v59, -v131, s6                               // 000000007954: D105003B 20000D83
	v_exp_f32_e32 v56, v56                                     // 00000000795C: 7E704138
	v_exp_f32_e32 v57, v57                                     // 000000007960: 7E724139
	v_exp_f32_e32 v58, v58                                     // 000000007964: 7E74413A
	v_exp_f32_e32 v59, v59                                     // 000000007968: 7E76413B
	buffer_load_dwordx4 a[4:7], v49, s[12:15], 0 offen         // 00000000796C: E05C1000 80830431
	v_add_f32_e64 v56, v56, 1.0                                // 000000007974: D1010038 0001E538
	v_add_f32_e64 v57, v57, 1.0                                // 00000000797C: D1010039 0001E539
	v_add_f32_e64 v58, v58, 1.0                                // 000000007984: D101003A 0001E53A
	v_add_f32_e64 v59, v59, 1.0                                // 00000000798C: D101003B 0001E53B
	v_rcp_f32_e32 v56, v56                                     // 000000007994: 7E704538
	v_rcp_f32_e32 v57, v57                                     // 000000007998: 7E724539
	v_rcp_f32_e32 v58, v58                                     // 00000000799C: 7E74453A
	v_rcp_f32_e32 v59, v59                                     // 0000000079A0: 7E76453B
	v_mul_f32_e32 v128, v128, v56                              // 0000000079A4: 0B007180
	v_mul_f32_e32 v129, v129, v57                              // 0000000079A8: 0B027381
	v_mul_f32_e32 v130, v130, v58                              // 0000000079AC: 0B047582
	v_mul_f32_e32 v131, v131, v59                              // 0000000079B0: 0B067783
	v_mul_f32_e32 v128, v128, v64                              // 0000000079B4: 0B008180
	v_mul_f32_e32 v129, v129, v65                              // 0000000079B8: 0B028381
	v_mul_f32_e32 v130, v130, v66                              // 0000000079BC: 0B048582
	v_mul_f32_e32 v131, v131, v67                              // 0000000079C0: 0B068783
	buffer_load_dwordx4 a[8:11], v50, s[12:15], 0 offen        // 0000000079C4: E05C1000 80830832
	v_mul_f32_e64 v56, -v132, s6                               // 0000000079CC: D1050038 20000D84
	v_mul_f32_e64 v57, -v133, s6                               // 0000000079D4: D1050039 20000D85
	v_mul_f32_e64 v58, -v134, s6                               // 0000000079DC: D105003A 20000D86
	v_mul_f32_e64 v59, -v135, s6                               // 0000000079E4: D105003B 20000D87
	v_exp_f32_e32 v56, v56                                     // 0000000079EC: 7E704138
	v_exp_f32_e32 v57, v57                                     // 0000000079F0: 7E724139
	v_exp_f32_e32 v58, v58                                     // 0000000079F4: 7E74413A
	v_exp_f32_e32 v59, v59                                     // 0000000079F8: 7E76413B
	buffer_load_dwordx4 a[12:15], v51, s[12:15], 0 offen       // 0000000079FC: E05C1000 80830C33
	s_add_u32 s12, s78, s12                                    // 000000007A04: 800C0C4E
	s_addc_u32 s13, 0, s13                                     // 000000007A08: 820D0D80
	v_add_f32_e64 v56, v56, 1.0                                // 000000007A0C: D1010038 0001E538
	v_add_f32_e64 v57, v57, 1.0                                // 000000007A14: D1010039 0001E539
	v_add_f32_e64 v58, v58, 1.0                                // 000000007A1C: D101003A 0001E53A
	v_add_f32_e64 v59, v59, 1.0                                // 000000007A24: D101003B 0001E53B
	v_rcp_f32_e32 v56, v56                                     // 000000007A2C: 7E704538
	v_rcp_f32_e32 v57, v57                                     // 000000007A30: 7E724539
	v_rcp_f32_e32 v58, v58                                     // 000000007A34: 7E74453A
	v_rcp_f32_e32 v59, v59                                     // 000000007A38: 7E76453B
	v_mul_f32_e32 v132, v132, v56                              // 000000007A3C: 0B087184
	v_mul_f32_e32 v133, v133, v57                              // 000000007A40: 0B0A7385
	v_mul_f32_e32 v134, v134, v58                              // 000000007A44: 0B0C7586
	v_mul_f32_e32 v135, v135, v59                              // 000000007A48: 0B0E7787
	v_mul_f32_e32 v132, v132, v68                              // 000000007A4C: 0B088984
	v_mul_f32_e32 v133, v133, v69                              // 000000007A50: 0B0A8B85
	v_mul_f32_e32 v134, v134, v70                              // 000000007A54: 0B0C8D86
	v_mul_f32_e32 v135, v135, v71                              // 000000007A58: 0B0E8F87
	s_waitcnt vmcnt(12)                                        // 000000007A5C: BF8C0F7C
	buffer_load_dwordx4 a[16:19], v48, s[12:15], 0 offen       // 000000007A60: E05C1000 80831030
	v_mul_f32_e64 v56, -v136, s6                               // 000000007A68: D1050038 20000D88
	v_mul_f32_e64 v57, -v137, s6                               // 000000007A70: D1050039 20000D89
	v_mul_f32_e64 v58, -v138, s6                               // 000000007A78: D105003A 20000D8A
	v_mul_f32_e64 v59, -v139, s6                               // 000000007A80: D105003B 20000D8B
	v_exp_f32_e32 v56, v56                                     // 000000007A88: 7E704138
	v_exp_f32_e32 v57, v57                                     // 000000007A8C: 7E724139
	v_exp_f32_e32 v58, v58                                     // 000000007A90: 7E74413A
	v_exp_f32_e32 v59, v59                                     // 000000007A94: 7E76413B
	buffer_load_dwordx4 a[20:23], v49, s[12:15], 0 offen       // 000000007A98: E05C1000 80831431
	v_add_f32_e64 v56, v56, 1.0                                // 000000007AA0: D1010038 0001E538
	v_add_f32_e64 v57, v57, 1.0                                // 000000007AA8: D1010039 0001E539
	v_add_f32_e64 v58, v58, 1.0                                // 000000007AB0: D101003A 0001E53A
	v_add_f32_e64 v59, v59, 1.0                                // 000000007AB8: D101003B 0001E53B
	v_rcp_f32_e32 v56, v56                                     // 000000007AC0: 7E704538
	v_rcp_f32_e32 v57, v57                                     // 000000007AC4: 7E724539
	v_rcp_f32_e32 v58, v58                                     // 000000007AC8: 7E74453A
	v_rcp_f32_e32 v59, v59                                     // 000000007ACC: 7E76453B
	v_mul_f32_e32 v136, v136, v56                              // 000000007AD0: 0B107188
	v_mul_f32_e32 v137, v137, v57                              // 000000007AD4: 0B127389
	v_mul_f32_e32 v138, v138, v58                              // 000000007AD8: 0B14758A
	v_mul_f32_e32 v139, v139, v59                              // 000000007ADC: 0B16778B
	v_mul_f32_e32 v136, v136, v72                              // 000000007AE0: 0B109188
	v_mul_f32_e32 v137, v137, v73                              // 000000007AE4: 0B129389
	v_mul_f32_e32 v138, v138, v74                              // 000000007AE8: 0B14958A
	v_mul_f32_e32 v139, v139, v75                              // 000000007AEC: 0B16978B
	buffer_load_dwordx4 a[24:27], v50, s[12:15], 0 offen       // 000000007AF0: E05C1000 80831832
	v_mul_f32_e64 v56, -v140, s6                               // 000000007AF8: D1050038 20000D8C
	v_mul_f32_e64 v57, -v141, s6                               // 000000007B00: D1050039 20000D8D
	v_mul_f32_e64 v58, -v142, s6                               // 000000007B08: D105003A 20000D8E
	v_mul_f32_e64 v59, -v143, s6                               // 000000007B10: D105003B 20000D8F
	v_exp_f32_e32 v56, v56                                     // 000000007B18: 7E704138
	v_exp_f32_e32 v57, v57                                     // 000000007B1C: 7E724139
	v_exp_f32_e32 v58, v58                                     // 000000007B20: 7E74413A
	v_exp_f32_e32 v59, v59                                     // 000000007B24: 7E76413B
	buffer_load_dwordx4 a[28:31], v51, s[12:15], 0 offen       // 000000007B28: E05C1000 80831C33
	s_add_u32 s12, s78, s12                                    // 000000007B30: 800C0C4E
	s_addc_u32 s13, 0, s13                                     // 000000007B34: 820D0D80
	v_add_f32_e64 v56, v56, 1.0                                // 000000007B38: D1010038 0001E538
	v_add_f32_e64 v57, v57, 1.0                                // 000000007B40: D1010039 0001E539
	v_add_f32_e64 v58, v58, 1.0                                // 000000007B48: D101003A 0001E53A
	v_add_f32_e64 v59, v59, 1.0                                // 000000007B50: D101003B 0001E53B
	v_rcp_f32_e32 v56, v56                                     // 000000007B58: 7E704538
	v_rcp_f32_e32 v57, v57                                     // 000000007B5C: 7E724539
	v_rcp_f32_e32 v58, v58                                     // 000000007B60: 7E74453A
	v_rcp_f32_e32 v59, v59                                     // 000000007B64: 7E76453B
	v_mul_f32_e32 v140, v140, v56                              // 000000007B68: 0B18718C
	v_mul_f32_e32 v141, v141, v57                              // 000000007B6C: 0B1A738D
	v_mul_f32_e32 v142, v142, v58                              // 000000007B70: 0B1C758E
	v_mul_f32_e32 v143, v143, v59                              // 000000007B74: 0B1E778F
	v_mul_f32_e32 v140, v140, v76                              // 000000007B78: 0B18998C
	v_mul_f32_e32 v141, v141, v77                              // 000000007B7C: 0B1A9B8D
	v_mul_f32_e32 v142, v142, v78                              // 000000007B80: 0B1C9D8E
	v_mul_f32_e32 v143, v143, v79                              // 000000007B84: 0B1E9F8F
	s_waitcnt vmcnt(12)                                        // 000000007B88: BF8C0F7C
	buffer_load_dwordx4 a[32:35], v48, s[12:15], 0 offen       // 000000007B8C: E05C1000 80832030
	v_mul_f32_e64 v56, -v144, s6                               // 000000007B94: D1050038 20000D90
	v_mul_f32_e64 v57, -v145, s6                               // 000000007B9C: D1050039 20000D91
	v_mul_f32_e64 v58, -v146, s6                               // 000000007BA4: D105003A 20000D92
	v_mul_f32_e64 v59, -v147, s6                               // 000000007BAC: D105003B 20000D93
	v_exp_f32_e32 v56, v56                                     // 000000007BB4: 7E704138
	v_exp_f32_e32 v57, v57                                     // 000000007BB8: 7E724139
	v_exp_f32_e32 v58, v58                                     // 000000007BBC: 7E74413A
	v_exp_f32_e32 v59, v59                                     // 000000007BC0: 7E76413B
	buffer_load_dwordx4 a[36:39], v49, s[12:15], 0 offen       // 000000007BC4: E05C1000 80832431
	v_add_f32_e64 v56, v56, 1.0                                // 000000007BCC: D1010038 0001E538
	v_add_f32_e64 v57, v57, 1.0                                // 000000007BD4: D1010039 0001E539
	v_add_f32_e64 v58, v58, 1.0                                // 000000007BDC: D101003A 0001E53A
	v_add_f32_e64 v59, v59, 1.0                                // 000000007BE4: D101003B 0001E53B
	v_rcp_f32_e32 v56, v56                                     // 000000007BEC: 7E704538
	v_rcp_f32_e32 v57, v57                                     // 000000007BF0: 7E724539
	v_rcp_f32_e32 v58, v58                                     // 000000007BF4: 7E74453A
	v_rcp_f32_e32 v59, v59                                     // 000000007BF8: 7E76453B
	v_mul_f32_e32 v144, v144, v56                              // 000000007BFC: 0B207190
	v_mul_f32_e32 v145, v145, v57                              // 000000007C00: 0B227391
	v_mul_f32_e32 v146, v146, v58                              // 000000007C04: 0B247592
	v_mul_f32_e32 v147, v147, v59                              // 000000007C08: 0B267793
	v_mul_f32_e32 v144, v144, v80                              // 000000007C0C: 0B20A190
	v_mul_f32_e32 v145, v145, v81                              // 000000007C10: 0B22A391
	v_mul_f32_e32 v146, v146, v82                              // 000000007C14: 0B24A592
	v_mul_f32_e32 v147, v147, v83                              // 000000007C18: 0B26A793
	buffer_load_dwordx4 a[40:43], v50, s[12:15], 0 offen       // 000000007C1C: E05C1000 80832832
	v_mul_f32_e64 v56, -v148, s6                               // 000000007C24: D1050038 20000D94
	v_mul_f32_e64 v57, -v149, s6                               // 000000007C2C: D1050039 20000D95
	v_mul_f32_e64 v58, -v150, s6                               // 000000007C34: D105003A 20000D96
	v_mul_f32_e64 v59, -v151, s6                               // 000000007C3C: D105003B 20000D97
	v_exp_f32_e32 v56, v56                                     // 000000007C44: 7E704138
	v_exp_f32_e32 v57, v57                                     // 000000007C48: 7E724139
	v_exp_f32_e32 v58, v58                                     // 000000007C4C: 7E74413A
	v_exp_f32_e32 v59, v59                                     // 000000007C50: 7E76413B
	buffer_load_dwordx4 a[44:47], v51, s[12:15], 0 offen       // 000000007C54: E05C1000 80832C33
	s_add_u32 s12, s78, s12                                    // 000000007C5C: 800C0C4E
	s_addc_u32 s13, 0, s13                                     // 000000007C60: 820D0D80
	v_add_f32_e64 v56, v56, 1.0                                // 000000007C64: D1010038 0001E538
	v_add_f32_e64 v57, v57, 1.0                                // 000000007C6C: D1010039 0001E539
	v_add_f32_e64 v58, v58, 1.0                                // 000000007C74: D101003A 0001E53A
	v_add_f32_e64 v59, v59, 1.0                                // 000000007C7C: D101003B 0001E53B
	v_rcp_f32_e32 v56, v56                                     // 000000007C84: 7E704538
	v_rcp_f32_e32 v57, v57                                     // 000000007C88: 7E724539
	v_rcp_f32_e32 v58, v58                                     // 000000007C8C: 7E74453A
	v_rcp_f32_e32 v59, v59                                     // 000000007C90: 7E76453B
	v_mul_f32_e32 v148, v148, v56                              // 000000007C94: 0B287194
	v_mul_f32_e32 v149, v149, v57                              // 000000007C98: 0B2A7395
	v_mul_f32_e32 v150, v150, v58                              // 000000007C9C: 0B2C7596
	v_mul_f32_e32 v151, v151, v59                              // 000000007CA0: 0B2E7797
	v_mul_f32_e32 v148, v148, v84                              // 000000007CA4: 0B28A994
	v_mul_f32_e32 v149, v149, v85                              // 000000007CA8: 0B2AAB95
	v_mul_f32_e32 v150, v150, v86                              // 000000007CAC: 0B2CAD96
	v_mul_f32_e32 v151, v151, v87                              // 000000007CB0: 0B2EAF97
	s_waitcnt vmcnt(12)                                        // 000000007CB4: BF8C0F7C
	buffer_load_dwordx4 a[48:51], v48, s[12:15], 0 offen       // 000000007CB8: E05C1000 80833030
	v_mul_f32_e64 v56, -v152, s6                               // 000000007CC0: D1050038 20000D98
	v_mul_f32_e64 v57, -v153, s6                               // 000000007CC8: D1050039 20000D99
	v_mul_f32_e64 v58, -v154, s6                               // 000000007CD0: D105003A 20000D9A
	v_mul_f32_e64 v59, -v155, s6                               // 000000007CD8: D105003B 20000D9B
	v_exp_f32_e32 v56, v56                                     // 000000007CE0: 7E704138
	v_exp_f32_e32 v57, v57                                     // 000000007CE4: 7E724139
	v_exp_f32_e32 v58, v58                                     // 000000007CE8: 7E74413A
	v_exp_f32_e32 v59, v59                                     // 000000007CEC: 7E76413B
	buffer_load_dwordx4 a[52:55], v49, s[12:15], 0 offen       // 000000007CF0: E05C1000 80833431
	v_add_f32_e64 v56, v56, 1.0                                // 000000007CF8: D1010038 0001E538
	v_add_f32_e64 v57, v57, 1.0                                // 000000007D00: D1010039 0001E539
	v_add_f32_e64 v58, v58, 1.0                                // 000000007D08: D101003A 0001E53A
	v_add_f32_e64 v59, v59, 1.0                                // 000000007D10: D101003B 0001E53B
	v_rcp_f32_e32 v56, v56                                     // 000000007D18: 7E704538
	v_rcp_f32_e32 v57, v57                                     // 000000007D1C: 7E724539
	v_rcp_f32_e32 v58, v58                                     // 000000007D20: 7E74453A
	v_rcp_f32_e32 v59, v59                                     // 000000007D24: 7E76453B
	v_mul_f32_e32 v152, v152, v56                              // 000000007D28: 0B307198
	v_mul_f32_e32 v153, v153, v57                              // 000000007D2C: 0B327399
	v_mul_f32_e32 v154, v154, v58                              // 000000007D30: 0B34759A
	v_mul_f32_e32 v155, v155, v59                              // 000000007D34: 0B36779B
	v_mul_f32_e32 v152, v152, v88                              // 000000007D38: 0B30B198
	v_mul_f32_e32 v153, v153, v89                              // 000000007D3C: 0B32B399
	v_mul_f32_e32 v154, v154, v90                              // 000000007D40: 0B34B59A
	v_mul_f32_e32 v155, v155, v91                              // 000000007D44: 0B36B79B
	buffer_load_dwordx4 a[56:59], v50, s[12:15], 0 offen       // 000000007D48: E05C1000 80833832
	v_mul_f32_e64 v56, -v156, s6                               // 000000007D50: D1050038 20000D9C
	v_mul_f32_e64 v57, -v157, s6                               // 000000007D58: D1050039 20000D9D
	v_mul_f32_e64 v58, -v158, s6                               // 000000007D60: D105003A 20000D9E
	v_mul_f32_e64 v59, -v159, s6                               // 000000007D68: D105003B 20000D9F
	v_exp_f32_e32 v56, v56                                     // 000000007D70: 7E704138
	v_exp_f32_e32 v57, v57                                     // 000000007D74: 7E724139
	v_exp_f32_e32 v58, v58                                     // 000000007D78: 7E74413A
	v_exp_f32_e32 v59, v59                                     // 000000007D7C: 7E76413B
	buffer_load_dwordx4 a[60:63], v51, s[12:15], 0 offen       // 000000007D80: E05C1000 80833C33
	v_add_f32_e64 v56, v56, 1.0                                // 000000007D88: D1010038 0001E538
	v_add_f32_e64 v57, v57, 1.0                                // 000000007D90: D1010039 0001E539
	v_add_f32_e64 v58, v58, 1.0                                // 000000007D98: D101003A 0001E53A
	v_add_f32_e64 v59, v59, 1.0                                // 000000007DA0: D101003B 0001E53B
	v_rcp_f32_e32 v56, v56                                     // 000000007DA8: 7E704538
	v_rcp_f32_e32 v57, v57                                     // 000000007DAC: 7E724539
	v_rcp_f32_e32 v58, v58                                     // 000000007DB0: 7E74453A
	v_rcp_f32_e32 v59, v59                                     // 000000007DB4: 7E76453B
	v_mul_f32_e32 v156, v156, v56                              // 000000007DB8: 0B38719C
	v_mul_f32_e32 v157, v157, v57                              // 000000007DBC: 0B3A739D
	v_mul_f32_e32 v158, v158, v58                              // 000000007DC0: 0B3C759E
	v_mul_f32_e32 v159, v159, v59                              // 000000007DC4: 0B3E779F
	v_mul_f32_e32 v156, v156, v92                              // 000000007DC8: 0B38B99C
	v_mul_f32_e32 v157, v157, v93                              // 000000007DCC: 0B3ABB9D
	v_mul_f32_e32 v158, v158, v94                              // 000000007DD0: 0B3CBD9E
	v_mul_f32_e32 v159, v159, v95                              // 000000007DD4: 0B3EBF9F
	v_lshlrev_b32_e32 v56, 2, v0                               // 000000007DD8: 24700082
	s_mul_i32 s60, s82, s71                                    // 000000007DDC: 923C4752
	v_add_u32_e64 v80, v56, s60                                // 000000007DE0: D1340050 00007938
	v_mov_b32_e32 v81, 0                                       // 000000007DE8: 7EA20280
	s_mul_i32 s60, s83, s71                                    // 000000007DEC: 923C4753
	v_add_u32_e64 v82, v56, s60                                // 000000007DF0: D1340052 00007938
	v_mov_b32_e32 v83, 0                                       // 000000007DF8: 7EA60280
	s_mul_i32 s60, s84, s71                                    // 000000007DFC: 923C4754
	v_add_u32_e64 v84, v56, s60                                // 000000007E00: D1340054 00007938
	v_mov_b32_e32 v85, 0                                       // 000000007E08: 7EAA0280
	s_mul_i32 s60, s85, s71                                    // 000000007E0C: 923C4755
	v_add_u32_e64 v86, v56, s60                                // 000000007E10: D1340056 00007938
	v_mov_b32_e32 v87, 0                                       // 000000007E18: 7EAE0280
	s_mul_i32 s60, s86, s71                                    // 000000007E1C: 923C4756
	v_add_u32_e64 v88, v56, s60                                // 000000007E20: D1340058 00007938
	v_mov_b32_e32 v89, 0                                       // 000000007E28: 7EB20280
	s_mul_i32 s60, s87, s71                                    // 000000007E2C: 923C4757
	v_add_u32_e64 v90, v56, s60                                // 000000007E30: D134005A 00007938
	v_mov_b32_e32 v91, 0                                       // 000000007E38: 7EB60280
	s_mul_i32 s60, s88, s71                                    // 000000007E3C: 923C4758
	v_add_u32_e64 v92, v56, s60                                // 000000007E40: D134005C 00007938
	v_mov_b32_e32 v93, 0                                       // 000000007E48: 7EBA0280
	s_mul_i32 s60, s89, s71                                    // 000000007E4C: 923C4759
	v_add_u32_e64 v94, v56, s60                                // 000000007E50: D134005E 00007938
	v_mov_b32_e32 v95, 0                                       // 000000007E58: 7EBE0280
	buffer_load_dword v23, v6, s[16:19], 0 offen               // 000000007E5C: E0501000 80041706
	v_mov_b32_e32 v28, 0x358637bd                              // 000000007E64: 7E3802FF 358637BD
	v_mov_b32_e32 v29, 0x358637bd                              // 000000007E6C: 7E3A02FF 358637BD
	v_max3_f32 v28, |v128|, |v129|, v28                        // 000000007E74: D1D3031C 04730380
	v_max3_f32 v28, |v130|, |v131|, v28                        // 000000007E7C: D1D3031C 04730782
	v_max3_f32 v29, |v132|, |v133|, v29                        // 000000007E84: D1D3031D 04770B84
	v_max3_f32 v29, |v134|, |v135|, v29                        // 000000007E8C: D1D3031D 04770F86
	v_max3_f32 v28, |v136|, |v137|, v28                        // 000000007E94: D1D3031C 04731388
	v_max3_f32 v28, |v138|, |v139|, v28                        // 000000007E9C: D1D3031C 0473178A
	v_max3_f32 v29, |v140|, |v141|, v29                        // 000000007EA4: D1D3031D 04771B8C
	v_max3_f32 v29, |v142|, |v143|, v29                        // 000000007EAC: D1D3031D 04771F8E
	v_lshlrev_b32_e32 v56, 3, v0                               // 000000007EB4: 24700083
	s_mul_i32 s60, 0x200, s7                                   // 000000007EB8: 923C07FF 00000200
	v_add_u32_e32 v56, s60, v56                                // 000000007EC0: 6870703C
	ds_write_b64 v56, v[28:29] offset:18688                    // 000000007EC4: D89A4900 00001C38
	s_waitcnt lgkmcnt(0)                                       // 000000007ECC: BF8CC07F
	s_barrier                                                  // 000000007ED0: BF8A0000
	v_and_b32_e32 v56, 15, v0                                  // 000000007ED4: 2670008F
	v_lshlrev_b32_e32 v56, 3, v56                              // 000000007ED8: 24707083
	ds_read_b64 v[96:97], v56 offset:18688                     // 000000007EDC: D8EC4900 60000038
	ds_read_b64 v[98:99], v56 offset:18816                     // 000000007EE4: D8EC4980 62000038
	ds_read_b64 v[100:101], v56 offset:18944                   // 000000007EEC: D8EC4A00 64000038
	ds_read_b64 v[102:103], v56 offset:19072                   // 000000007EF4: D8EC4A80 66000038
	ds_read_b64 v[104:105], v56 offset:19200                   // 000000007EFC: D8EC4B00 68000038
	ds_read_b64 v[106:107], v56 offset:19328                   // 000000007F04: D8EC4B80 6A000038
	ds_read_b64 v[108:109], v56 offset:19456                   // 000000007F0C: D8EC4C00 6C000038
	ds_read_b64 v[110:111], v56 offset:19584                   // 000000007F14: D8EC4C80 6E000038
	ds_read_b64 v[112:113], v56 offset:19712                   // 000000007F1C: D8EC4D00 70000038
	ds_read_b64 v[114:115], v56 offset:19840                   // 000000007F24: D8EC4D80 72000038
	ds_read_b64 v[116:117], v56 offset:19968                   // 000000007F2C: D8EC4E00 74000038
	ds_read_b64 v[118:119], v56 offset:20096                   // 000000007F34: D8EC4E80 76000038
	ds_read_b64 v[120:121], v56 offset:20224                   // 000000007F3C: D8EC4F00 78000038
	ds_read_b64 v[122:123], v56 offset:20352                   // 000000007F44: D8EC4F80 7A000038
	ds_read_b64 v[124:125], v56 offset:20480                   // 000000007F4C: D8EC5000 7C000038
	ds_read_b64 v[126:127], v56 offset:20608                   // 000000007F54: D8EC5080 7E000038
	s_waitcnt lgkmcnt(0)                                       // 000000007F5C: BF8CC07F
	v_max3_f32 v28, |v96|, |v98|, v28                          // 000000007F60: D1D3031C 0472C560
	v_max3_f32 v29, |v97|, |v99|, v29                          // 000000007F68: D1D3031D 0476C761
	v_max3_f32 v28, |v100|, |v102|, v28                        // 000000007F70: D1D3031C 0472CD64
	v_max3_f32 v29, |v101|, |v103|, v29                        // 000000007F78: D1D3031D 0476CF65
	v_max3_f32 v28, |v104|, |v106|, v28                        // 000000007F80: D1D3031C 0472D568
	v_max3_f32 v29, |v105|, |v107|, v29                        // 000000007F88: D1D3031D 0476D769
	v_max3_f32 v28, |v108|, |v110|, v28                        // 000000007F90: D1D3031C 0472DD6C
	v_max3_f32 v29, |v109|, |v111|, v29                        // 000000007F98: D1D3031D 0476DF6D
	v_max3_f32 v28, |v112|, |v114|, v28                        // 000000007FA0: D1D3031C 0472E570
	v_max3_f32 v29, |v113|, |v115|, v29                        // 000000007FA8: D1D3031D 0476E771
	v_max3_f32 v28, |v116|, |v118|, v28                        // 000000007FB0: D1D3031C 0472ED74
	v_max3_f32 v29, |v117|, |v119|, v29                        // 000000007FB8: D1D3031D 0476EF75
	v_max3_f32 v28, |v120|, |v122|, v28                        // 000000007FC0: D1D3031C 0472F578
	v_max3_f32 v29, |v121|, |v123|, v29                        // 000000007FC8: D1D3031D 0476F779
	v_max3_f32 v28, |v124|, |v126|, v28                        // 000000007FD0: D1D3031C 0472FD7C
	v_max3_f32 v29, |v125|, |v127|, v29                        // 000000007FD8: D1D3031D 0476FF7D
	v_rcp_f32_e32 v28, v28                                     // 000000007FE0: 7E38451C
	v_rcp_f32_e32 v29, v29                                     // 000000007FE4: 7E3A451D
	v_mov_b32_e32 v56, 0x43700000                              // 000000007FE8: 7E7002FF 43700000
	v_mul_f32_e32 v28, v56, v28                                // 000000007FF0: 0A383938
	v_mul_f32_e32 v29, v56, v29                                // 000000007FF4: 0A3A3B38
	v_mul_f32_e32 v128, v28, v128                              // 000000007FF8: 0B01011C
	v_mul_f32_e32 v129, v28, v129                              // 000000007FFC: 0B03031C
	v_mul_f32_e32 v130, v28, v130                              // 000000008000: 0B05051C
	v_mul_f32_e32 v131, v28, v131                              // 000000008004: 0B07071C
	v_cvt_pk_fp8_f32 v128, v128, v129                          // 000000008008: D2A20080 00030380
	v_cvt_pk_fp8_f32 v128, v130, v131 op_sel:[0,0,1]           // 000000008010: D2A24080 00030782
	v_mul_f32_e32 v132, v29, v132                              // 000000008018: 0B09091D
	v_mul_f32_e32 v133, v29, v133                              // 00000000801C: 0B0B0B1D
	v_mul_f32_e32 v134, v29, v134                              // 000000008020: 0B0D0D1D
	v_mul_f32_e32 v135, v29, v135                              // 000000008024: 0B0F0F1D
	v_cvt_pk_fp8_f32 v129, v132, v133                          // 000000008028: D2A20081 00030B84
	v_cvt_pk_fp8_f32 v129, v134, v135 op_sel:[0,0,1]           // 000000008030: D2A24081 00030F86
	v_mul_f32_e32 v136, v28, v136                              // 000000008038: 0B11111C
	v_mul_f32_e32 v137, v28, v137                              // 00000000803C: 0B13131C
	v_mul_f32_e32 v138, v28, v138                              // 000000008040: 0B15151C
	v_mul_f32_e32 v139, v28, v139                              // 000000008044: 0B17171C
	v_cvt_pk_fp8_f32 v130, v136, v137                          // 000000008048: D2A20082 00031388
	v_cvt_pk_fp8_f32 v130, v138, v139 op_sel:[0,0,1]           // 000000008050: D2A24082 0003178A
	v_mul_f32_e32 v140, v29, v140                              // 000000008058: 0B19191D
	v_mul_f32_e32 v141, v29, v141                              // 00000000805C: 0B1B1B1D
	v_mul_f32_e32 v142, v29, v142                              // 000000008060: 0B1D1D1D
	v_mul_f32_e32 v143, v29, v143                              // 000000008064: 0B1F1F1D
	v_cvt_pk_fp8_f32 v131, v140, v141                          // 000000008068: D2A20083 00031B8C
	v_cvt_pk_fp8_f32 v131, v142, v143 op_sel:[0,0,1]           // 000000008070: D2A24083 00031F8E
	v_rcp_f32_e32 v32, v28                                     // 000000008078: 7E40451C
	v_rcp_f32_e32 v33, v29                                     // 00000000807C: 7E42451D
	v_mov_b32_e32 v30, 0x358637bd                              // 000000008080: 7E3C02FF 358637BD
	v_mov_b32_e32 v31, 0x358637bd                              // 000000008088: 7E3E02FF 358637BD
	v_max3_f32 v30, |v144|, |v145|, v30                        // 000000008090: D1D3031E 047B2390
	v_max3_f32 v30, |v146|, |v147|, v30                        // 000000008098: D1D3031E 047B2792
	v_max3_f32 v31, |v148|, |v149|, v31                        // 0000000080A0: D1D3031F 047F2B94
	v_max3_f32 v31, |v150|, |v151|, v31                        // 0000000080A8: D1D3031F 047F2F96
	v_max3_f32 v30, |v152|, |v153|, v30                        // 0000000080B0: D1D3031E 047B3398
	v_max3_f32 v30, |v154|, |v155|, v30                        // 0000000080B8: D1D3031E 047B379A
	v_max3_f32 v31, |v156|, |v157|, v31                        // 0000000080C0: D1D3031F 047F3B9C
	v_max3_f32 v31, |v158|, |v159|, v31                        // 0000000080C8: D1D3031F 047F3F9E
	v_lshlrev_b32_e32 v56, 3, v0                               // 0000000080D0: 24700083
	s_mul_i32 s60, 0x200, s7                                   // 0000000080D4: 923C07FF 00000200
	v_add_u32_e32 v56, s60, v56                                // 0000000080DC: 6870703C
	ds_write_b64 v56, v[30:31] offset:18688                    // 0000000080E0: D89A4900 00001E38
	s_waitcnt lgkmcnt(0)                                       // 0000000080E8: BF8CC07F
	s_barrier                                                  // 0000000080EC: BF8A0000
	v_and_b32_e32 v56, 15, v0                                  // 0000000080F0: 2670008F
	v_lshlrev_b32_e32 v56, 3, v56                              // 0000000080F4: 24707083
	ds_read_b64 v[96:97], v56 offset:18688                     // 0000000080F8: D8EC4900 60000038
	ds_read_b64 v[98:99], v56 offset:18816                     // 000000008100: D8EC4980 62000038
	ds_read_b64 v[100:101], v56 offset:18944                   // 000000008108: D8EC4A00 64000038
	ds_read_b64 v[102:103], v56 offset:19072                   // 000000008110: D8EC4A80 66000038
	ds_read_b64 v[104:105], v56 offset:19200                   // 000000008118: D8EC4B00 68000038
	ds_read_b64 v[106:107], v56 offset:19328                   // 000000008120: D8EC4B80 6A000038
	ds_read_b64 v[108:109], v56 offset:19456                   // 000000008128: D8EC4C00 6C000038
	ds_read_b64 v[110:111], v56 offset:19584                   // 000000008130: D8EC4C80 6E000038
	ds_read_b64 v[112:113], v56 offset:19712                   // 000000008138: D8EC4D00 70000038
	ds_read_b64 v[114:115], v56 offset:19840                   // 000000008140: D8EC4D80 72000038
	ds_read_b64 v[116:117], v56 offset:19968                   // 000000008148: D8EC4E00 74000038
	ds_read_b64 v[118:119], v56 offset:20096                   // 000000008150: D8EC4E80 76000038
	ds_read_b64 v[120:121], v56 offset:20224                   // 000000008158: D8EC4F00 78000038
	ds_read_b64 v[122:123], v56 offset:20352                   // 000000008160: D8EC4F80 7A000038
	ds_read_b64 v[124:125], v56 offset:20480                   // 000000008168: D8EC5000 7C000038
	ds_read_b64 v[126:127], v56 offset:20608                   // 000000008170: D8EC5080 7E000038
	s_waitcnt lgkmcnt(0)                                       // 000000008178: BF8CC07F
	v_max3_f32 v30, |v96|, |v98|, v30                          // 00000000817C: D1D3031E 047AC560
	v_max3_f32 v31, |v97|, |v99|, v31                          // 000000008184: D1D3031F 047EC761
	v_max3_f32 v30, |v100|, |v102|, v30                        // 00000000818C: D1D3031E 047ACD64
	v_max3_f32 v31, |v101|, |v103|, v31                        // 000000008194: D1D3031F 047ECF65
	v_max3_f32 v30, |v104|, |v106|, v30                        // 00000000819C: D1D3031E 047AD568
	v_max3_f32 v31, |v105|, |v107|, v31                        // 0000000081A4: D1D3031F 047ED769
	v_max3_f32 v30, |v108|, |v110|, v30                        // 0000000081AC: D1D3031E 047ADD6C
	v_max3_f32 v31, |v109|, |v111|, v31                        // 0000000081B4: D1D3031F 047EDF6D
	v_max3_f32 v30, |v112|, |v114|, v30                        // 0000000081BC: D1D3031E 047AE570
	v_max3_f32 v31, |v113|, |v115|, v31                        // 0000000081C4: D1D3031F 047EE771
	v_max3_f32 v30, |v116|, |v118|, v30                        // 0000000081CC: D1D3031E 047AED74
	v_max3_f32 v31, |v117|, |v119|, v31                        // 0000000081D4: D1D3031F 047EEF75
	v_max3_f32 v30, |v120|, |v122|, v30                        // 0000000081DC: D1D3031E 047AF578
	v_max3_f32 v31, |v121|, |v123|, v31                        // 0000000081E4: D1D3031F 047EF779
	v_max3_f32 v30, |v124|, |v126|, v30                        // 0000000081EC: D1D3031E 047AFD7C
	v_max3_f32 v31, |v125|, |v127|, v31                        // 0000000081F4: D1D3031F 047EFF7D
	v_rcp_f32_e32 v30, v30                                     // 0000000081FC: 7E3C451E
	v_rcp_f32_e32 v31, v31                                     // 000000008200: 7E3E451F
	v_mov_b32_e32 v56, 0x43700000                              // 000000008204: 7E7002FF 43700000
	v_mul_f32_e32 v30, v56, v30                                // 00000000820C: 0A3C3D38
	v_mul_f32_e32 v31, v56, v31                                // 000000008210: 0A3E3F38
	v_mul_f32_e32 v144, v30, v144                              // 000000008214: 0B21211E
	v_mul_f32_e32 v145, v30, v145                              // 000000008218: 0B23231E
	v_mul_f32_e32 v146, v30, v146                              // 00000000821C: 0B25251E
	v_mul_f32_e32 v147, v30, v147                              // 000000008220: 0B27271E
	v_cvt_pk_fp8_f32 v132, v144, v145                          // 000000008224: D2A20084 00032390
	v_cvt_pk_fp8_f32 v132, v146, v147 op_sel:[0,0,1]           // 00000000822C: D2A24084 00032792
	v_mul_f32_e32 v148, v31, v148                              // 000000008234: 0B29291F
	v_mul_f32_e32 v149, v31, v149                              // 000000008238: 0B2B2B1F
	v_mul_f32_e32 v150, v31, v150                              // 00000000823C: 0B2D2D1F
	v_mul_f32_e32 v151, v31, v151                              // 000000008240: 0B2F2F1F
	v_cvt_pk_fp8_f32 v133, v148, v149                          // 000000008244: D2A20085 00032B94
	v_cvt_pk_fp8_f32 v133, v150, v151 op_sel:[0,0,1]           // 00000000824C: D2A24085 00032F96
	v_mul_f32_e32 v152, v30, v152                              // 000000008254: 0B31311E
	v_mul_f32_e32 v153, v30, v153                              // 000000008258: 0B33331E
	v_mul_f32_e32 v154, v30, v154                              // 00000000825C: 0B35351E
	v_mul_f32_e32 v155, v30, v155                              // 000000008260: 0B37371E
	v_cvt_pk_fp8_f32 v134, v152, v153                          // 000000008264: D2A20086 00033398
	v_cvt_pk_fp8_f32 v134, v154, v155 op_sel:[0,0,1]           // 00000000826C: D2A24086 0003379A
	v_mul_f32_e32 v156, v31, v156                              // 000000008274: 0B39391F
	v_mul_f32_e32 v157, v31, v157                              // 000000008278: 0B3B3B1F
	v_mul_f32_e32 v158, v31, v158                              // 00000000827C: 0B3D3D1F
	v_mul_f32_e32 v159, v31, v159                              // 000000008280: 0B3F3F1F
	v_cvt_pk_fp8_f32 v135, v156, v157                          // 000000008284: D2A20087 00033B9C
	v_cvt_pk_fp8_f32 v135, v158, v159 op_sel:[0,0,1]           // 00000000828C: D2A24087 00033F9E
	v_rcp_f32_e32 v34, v30                                     // 000000008294: 7E44451E
	v_rcp_f32_e32 v35, v31                                     // 000000008298: 7E46451F
	v_lshrrev_b32_e32 v56, 5, v0                               // 00000000829C: 20700085
	v_lshlrev_b32_e32 v57, 5, v56                              // 0000000082A0: 24727085
	v_and_b32_e32 v56, 31, v0                                  // 0000000082A4: 2670009F
	v_lshrrev_b32_e32 v58, 4, v56                              // 0000000082A8: 20747084
	v_add_u32_e32 v57, v58, v57                                // 0000000082AC: 6872733A
	v_and_b32_e32 v56, 15, v0                                  // 0000000082B0: 2670008F
	v_lshlrev_b32_e32 v56, 1, v56                              // 0000000082B4: 24707081
	v_add_u32_e32 v57, v56, v57                                // 0000000082B8: 68727338
	v_lshlrev_b32_e32 v56, 2, v57                              // 0000000082BC: 24707282
	s_mul_i32 s60, 0x100, s7                                   // 0000000082C0: 923C07FF 00000100
	v_add_u32_e64 v56, v56, s60                                // 0000000082C8: D1340038 00007938
	ds_write_b32 v56, v128 offset:20736                        // 0000000082D0: D81A5100 00008038
	ds_write_b32 v56, v129 offset:24832                        // 0000000082D8: D81A6100 00008138
	ds_write_b32 v56, v130 offset:21760                        // 0000000082E0: D81A5500 00008238
	ds_write_b32 v56, v131 offset:25856                        // 0000000082E8: D81A6500 00008338
	ds_write_b32 v56, v132 offset:22784                        // 0000000082F0: D81A5900 00008438
	ds_write_b32 v56, v133 offset:26880                        // 0000000082F8: D81A6900 00008538
	ds_write_b32 v56, v134 offset:23808                        // 000000008300: D81A5D00 00008638
	ds_write_b32 v56, v135 offset:27904                        // 000000008308: D81A6D00 00008738
	s_waitcnt lgkmcnt(0)                                       // 000000008310: BF8CC07F
	s_barrier                                                  // 000000008314: BF8A0000
	v_lshrrev_b32_e32 v56, 4, v0                               // 000000008318: 20700084
	v_lshlrev_b32_e32 v57, 6, v56                              // 00000000831C: 24727086
	v_and_b32_e32 v56, 15, v0                                  // 000000008320: 2670008F
	v_lshlrev_b32_e32 v56, 1, v56                              // 000000008324: 24707081
	v_add_u32_e32 v57, v56, v57                                // 000000008328: 68727338
	v_lshlrev_b32_e32 v56, 2, v57                              // 00000000832C: 24707282
	ds_read_b64 v[128:129], v56 offset:20736                   // 000000008330: D8EC5100 80000038
	ds_read_b64 v[130:131], v56 offset:20864                   // 000000008338: D8EC5180 82000038
	ds_read_b64 v[132:133], v56 offset:21760                   // 000000008340: D8EC5500 84000038
	ds_read_b64 v[134:135], v56 offset:21888                   // 000000008348: D8EC5580 86000038
	ds_read_b64 v[136:137], v56 offset:22784                   // 000000008350: D8EC5900 88000038
	ds_read_b64 v[138:139], v56 offset:22912                   // 000000008358: D8EC5980 8A000038
	ds_read_b64 v[140:141], v56 offset:23808                   // 000000008360: D8EC5D00 8C000038
	ds_read_b64 v[142:143], v56 offset:23936                   // 000000008368: D8EC5D80 8E000038
	ds_read_b64 v[144:145], v56 offset:24832                   // 000000008370: D8EC6100 90000038
	ds_read_b64 v[146:147], v56 offset:24960                   // 000000008378: D8EC6180 92000038
	ds_read_b64 v[148:149], v56 offset:25856                   // 000000008380: D8EC6500 94000038
	ds_read_b64 v[150:151], v56 offset:25984                   // 000000008388: D8EC6580 96000038
	ds_read_b64 v[152:153], v56 offset:26880                   // 000000008390: D8EC6900 98000038
	ds_read_b64 v[154:155], v56 offset:27008                   // 000000008398: D8EC6980 9A000038
	ds_read_b64 v[156:157], v56 offset:27904                   // 0000000083A0: D8EC6D00 9C000038
	ds_read_b64 v[158:159], v56 offset:28032                   // 0000000083A8: D8EC6D80 9E000038
	s_add_u32 s12, s56, s12                                    // 0000000083B0: 800C0C38
	s_addc_u32 s13, 0, s13                                     // 0000000083B4: 820D0D80
	s_add_u32 s16, s79, s16                                    // 0000000083B8: 8010104F
	s_addc_u32 s17, 0, s17                                     // 0000000083BC: 82111180
	s_waitcnt lgkmcnt(0)                                       // 0000000083C0: BF8CC07F
	s_barrier                                                  // 0000000083C4: BF8A0000
	v_mov_b32_e32 v192, 0                                      // 0000000083C8: 7F800280
	v_mov_b32_e32 v224, 0                                      // 0000000083CC: 7FC00280
	v_mov_b32_e32 v193, 0                                      // 0000000083D0: 7F820280
	v_mov_b32_e32 v225, 0                                      // 0000000083D4: 7FC20280
	v_mov_b32_e32 v194, 0                                      // 0000000083D8: 7F840280
	v_mov_b32_e32 v226, 0                                      // 0000000083DC: 7FC40280
	v_mov_b32_e32 v195, 0                                      // 0000000083E0: 7F860280
	v_mov_b32_e32 v227, 0                                      // 0000000083E4: 7FC60280
	v_mov_b32_e32 v196, 0                                      // 0000000083E8: 7F880280
	v_mov_b32_e32 v228, 0                                      // 0000000083EC: 7FC80280
	v_mov_b32_e32 v197, 0                                      // 0000000083F0: 7F8A0280
	v_mov_b32_e32 v229, 0                                      // 0000000083F4: 7FCA0280
	v_mov_b32_e32 v198, 0                                      // 0000000083F8: 7F8C0280
	v_mov_b32_e32 v230, 0                                      // 0000000083FC: 7FCC0280
	v_mov_b32_e32 v199, 0                                      // 000000008400: 7F8E0280
	v_mov_b32_e32 v231, 0                                      // 000000008404: 7FCE0280
	v_mov_b32_e32 v200, 0                                      // 000000008408: 7F900280
	v_mov_b32_e32 v232, 0                                      // 00000000840C: 7FD00280
	v_mov_b32_e32 v201, 0                                      // 000000008410: 7F920280
	v_mov_b32_e32 v233, 0                                      // 000000008414: 7FD20280
	v_mov_b32_e32 v202, 0                                      // 000000008418: 7F940280
	v_mov_b32_e32 v234, 0                                      // 00000000841C: 7FD40280
	v_mov_b32_e32 v203, 0                                      // 000000008420: 7F960280
	v_mov_b32_e32 v235, 0                                      // 000000008424: 7FD60280
	v_mov_b32_e32 v204, 0                                      // 000000008428: 7F980280
	v_mov_b32_e32 v236, 0                                      // 00000000842C: 7FD80280
	v_mov_b32_e32 v205, 0                                      // 000000008430: 7F9A0280
	v_mov_b32_e32 v237, 0                                      // 000000008434: 7FDA0280
	v_mov_b32_e32 v206, 0                                      // 000000008438: 7F9C0280
	v_mov_b32_e32 v238, 0                                      // 00000000843C: 7FDC0280
	v_mov_b32_e32 v207, 0                                      // 000000008440: 7F9E0280
	v_mov_b32_e32 v239, 0                                      // 000000008444: 7FDE0280
	ds_write_b64 v4, v[192:193] offset:20736                   // 000000008448: D89A5100 0000C004
	ds_write_b64 v4, v[194:195] offset:29440                   // 000000008450: D89A7300 0000C204
	ds_write_b64 v4, v[196:197] offset:22912                   // 000000008458: D89A5980 0000C404
	ds_write_b64 v4, v[198:199] offset:31616                   // 000000008460: D89A7B80 0000C604
	ds_write_b64 v4, v[200:201] offset:25088                   // 000000008468: D89A6200 0000C804
	ds_write_b64 v4, v[202:203] offset:33792                   // 000000008470: D89A8400 0000CA04
	ds_write_b64 v4, v[204:205] offset:27264                   // 000000008478: D89A6A80 0000CC04
	ds_write_b64 v4, v[206:207] offset:35968                   // 000000008480: D89A8C80 0000CE04
	s_mov_b32 s80, 0                                           // 000000008488: BED00080
	s_waitcnt vmcnt(0) expcnt(0) lgkmcnt(0)                    // 00000000848C: BF8C0000

0000000000008490 <label_15A4>:
	s_waitcnt vmcnt(28) lgkmcnt(0)                             // 000000008490: BF8C407C
	s_barrier                                                  // 000000008494: BF8A0000
	v_mfma_f32_16x16x32_fp8_fp8 v[192:195], a[0:1], v[128:129], 0// 000000008498: D3F300C0 0A030100
	buffer_load_dwordx4 a[64:67], v48, s[12:15], 0 offen       // 0000000084A0: E05C1000 80834030
	v_mfma_f32_16x16x32_fp8_fp8 v[192:195], a[2:3], v[130:131], v[192:195]// 0000000084A8: D3F300C0 0F030502
	ds_read_b32 v64, v5 offset:20736                           // 0000000084B0: D86C5100 40000005
	ds_read_b32 v65, v5 offset:25088                           // 0000000084B8: D86C6200 41000005
	v_mfma_f32_16x16x32_fp8_fp8 v[196:199], a[0:1], v[144:145], 0// 0000000084C0: D3F300C4 0A032100
	buffer_load_dword v24, v6, s[16:19], 0 offen               // 0000000084C8: E0501000 80041806
	v_mfma_f32_16x16x32_fp8_fp8 v[196:199], a[2:3], v[146:147], v[196:199]// 0000000084D0: D3F300C4 0F132502
	ds_read_b32 v66, v5 offset:20768                           // 0000000084D8: D86C5120 42000005
	ds_read_b32 v67, v5 offset:25120                           // 0000000084E0: D86C6220 43000005
	v_mfma_f32_16x16x32_fp8_fp8 v[200:203], a[4:5], v[128:129], 0// 0000000084E8: D3F300C8 0A030104
	buffer_load_dwordx4 a[68:71], v49, s[12:15], 0 offen       // 0000000084F0: E05C1000 80834431
	v_mfma_f32_16x16x32_fp8_fp8 v[200:203], a[6:7], v[130:131], v[200:203]// 0000000084F8: D3F300C8 0F230506
	ds_read_b32 v68, v5 offset:20800                           // 000000008500: D86C5140 44000005
	ds_read_b32 v69, v5 offset:25152                           // 000000008508: D86C6240 45000005
	v_mfma_f32_16x16x32_fp8_fp8 v[204:207], a[4:5], v[144:145], 0// 000000008510: D3F300CC 0A032104
	v_mfma_f32_16x16x32_fp8_fp8 v[204:207], a[6:7], v[146:147], v[204:207]// 000000008518: D3F300CC 0F332506
	ds_read_b32 v70, v5 offset:20832                           // 000000008520: D86C5160 46000005
	ds_read_b32 v71, v5 offset:25184                           // 000000008528: D86C6260 47000005
	v_mfma_f32_16x16x32_fp8_fp8 v[208:211], a[8:9], v[128:129], 0// 000000008530: D3F300D0 0A030108
	buffer_load_dwordx4 a[72:75], v50, s[12:15], 0 offen       // 000000008538: E05C1000 80834832
	v_mfma_f32_16x16x32_fp8_fp8 v[208:211], a[10:11], v[130:131], v[208:211]// 000000008540: D3F300D0 0F43050A
	ds_read_b32 v72, v5 offset:29440                           // 000000008548: D86C7300 48000005
	ds_read_b32 v73, v5 offset:33792                           // 000000008550: D86C8400 49000005
	v_mfma_f32_16x16x32_fp8_fp8 v[212:215], a[8:9], v[144:145], 0// 000000008558: D3F300D4 0A032108
	v_mfma_f32_16x16x32_fp8_fp8 v[212:215], a[10:11], v[146:147], v[212:215]// 000000008560: D3F300D4 0F53250A
	ds_read_b32 v74, v5 offset:29472                           // 000000008568: D86C7320 4A000005
	ds_read_b32 v75, v5 offset:33824                           // 000000008570: D86C8420 4B000005
	v_mfma_f32_16x16x32_fp8_fp8 v[216:219], a[12:13], v[128:129], 0// 000000008578: D3F300D8 0A03010C
	buffer_load_dwordx4 a[76:79], v51, s[12:15], 0 offen       // 000000008580: E05C1000 80834C33
	s_add_u32 s12, s78, s12                                    // 000000008588: 800C0C4E
	s_addc_u32 s13, 0, s13                                     // 00000000858C: 820D0D80
	v_mfma_f32_16x16x32_fp8_fp8 v[216:219], a[14:15], v[130:131], v[216:219]// 000000008590: D3F300D8 0F63050E
	ds_read_b32 v76, v5 offset:29504                           // 000000008598: D86C7340 4C000005
	ds_read_b32 v77, v5 offset:33856                           // 0000000085A0: D86C8440 4D000005
	v_mfma_f32_16x16x32_fp8_fp8 v[220:223], a[12:13], v[144:145], 0// 0000000085A8: D3F300DC 0A03210C
	v_mfma_f32_16x16x32_fp8_fp8 v[220:223], a[14:15], v[146:147], v[220:223]// 0000000085B0: D3F300DC 0F73250E
	ds_read_b32 v78, v5 offset:29536                           // 0000000085B8: D86C7360 4E000005
	ds_read_b32 v79, v5 offset:33888                           // 0000000085C0: D86C8460 4F000005
	s_waitcnt vmcnt(29)                                        // 0000000085C8: BF8C4F7D
	v_mfma_f32_16x16x32_fp8_fp8 v[192:195], a[16:17], v[132:133], v[192:195]// 0000000085CC: D3F300C0 0F030910
	buffer_load_dwordx4 a[80:83], v48, s[12:15], 0 offen       // 0000000085D4: E05C1000 80835030
	v_mfma_f32_16x16x32_fp8_fp8 v[192:195], a[18:19], v[134:135], v[192:195]// 0000000085DC: D3F300C0 0F030D12
	v_mfma_f32_16x16x32_fp8_fp8 v[196:199], a[16:17], v[148:149], v[196:199]// 0000000085E4: D3F300C4 0F132910
	v_mfma_f32_16x16x32_fp8_fp8 v[196:199], a[18:19], v[150:151], v[196:199]// 0000000085EC: D3F300C4 0F132D12
	v_mfma_f32_16x16x32_fp8_fp8 v[200:203], a[20:21], v[132:133], v[200:203]// 0000000085F4: D3F300C8 0F230914
	buffer_load_dwordx4 a[84:87], v49, s[12:15], 0 offen       // 0000000085FC: E05C1000 80835431
	v_mfma_f32_16x16x32_fp8_fp8 v[200:203], a[22:23], v[134:135], v[200:203]// 000000008604: D3F300C8 0F230D16
	v_mfma_f32_16x16x32_fp8_fp8 v[204:207], a[20:21], v[148:149], v[204:207]// 00000000860C: D3F300CC 0F332914
	v_mfma_f32_16x16x32_fp8_fp8 v[204:207], a[22:23], v[150:151], v[204:207]// 000000008614: D3F300CC 0F332D16
	v_mfma_f32_16x16x32_fp8_fp8 v[208:211], a[24:25], v[132:133], v[208:211]// 00000000861C: D3F300D0 0F430918
	buffer_load_dwordx4 a[88:91], v50, s[12:15], 0 offen       // 000000008624: E05C1000 80835832
	v_mfma_f32_16x16x32_fp8_fp8 v[208:211], a[26:27], v[134:135], v[208:211]// 00000000862C: D3F300D0 0F430D1A
	v_mfma_f32_16x16x32_fp8_fp8 v[212:215], a[24:25], v[148:149], v[212:215]// 000000008634: D3F300D4 0F532918
	v_mfma_f32_16x16x32_fp8_fp8 v[212:215], a[26:27], v[150:151], v[212:215]// 00000000863C: D3F300D4 0F532D1A
	v_mfma_f32_16x16x32_fp8_fp8 v[216:219], a[28:29], v[132:133], v[216:219]// 000000008644: D3F300D8 0F63091C
	buffer_load_dwordx4 a[92:95], v51, s[12:15], 0 offen       // 00000000864C: E05C1000 80835C33
	s_add_u32 s12, s78, s12                                    // 000000008654: 800C0C4E
	s_addc_u32 s13, 0, s13                                     // 000000008658: 820D0D80
	v_mfma_f32_16x16x32_fp8_fp8 v[216:219], a[30:31], v[134:135], v[216:219]// 00000000865C: D3F300D8 0F630D1E
	v_mfma_f32_16x16x32_fp8_fp8 v[220:223], a[28:29], v[148:149], v[220:223]// 000000008664: D3F300DC 0F73291C
	v_mfma_f32_16x16x32_fp8_fp8 v[220:223], a[30:31], v[150:151], v[220:223]// 00000000866C: D3F300DC 0F732D1E
	v_mul_f32_dpp v56, v23, v32 row_newbcast:0 row_mask:0xf bank_mask:0xf// 000000008674: 0A7040FA FF015017
	v_mov_b32_e32 v57, v56                                     // 00000000867C: 7E720338
	v_pk_mul_f32 v[192:193], v[56:57], v[192:193]              // 000000008680: D3B140C0 18038138
	v_pk_mul_f32 v[194:195], v[56:57], v[194:195]              // 000000008688: D3B140C2 18038538
	v_pk_mul_f32 v[200:201], v[56:57], v[200:201]              // 000000008690: D3B140C8 18039138
	v_pk_mul_f32 v[202:203], v[56:57], v[202:203]              // 000000008698: D3B140CA 18039538
	v_mul_f32_dpp v56, v23, v32 row_newbcast:1 row_mask:0xf bank_mask:0xf// 0000000086A0: 0A7040FA FF015117
	v_mov_b32_e32 v57, v56                                     // 0000000086A8: 7E720338
	v_pk_mul_f32 v[208:209], v[56:57], v[208:209]              // 0000000086AC: D3B140D0 1803A138
	v_pk_mul_f32 v[210:211], v[56:57], v[210:211]              // 0000000086B4: D3B140D2 1803A538
	v_pk_mul_f32 v[216:217], v[56:57], v[216:217]              // 0000000086BC: D3B140D8 1803B138
	v_pk_mul_f32 v[218:219], v[56:57], v[218:219]              // 0000000086C4: D3B140DA 1803B538
	v_mul_f32_dpp v56, v23, v33 row_newbcast:0 row_mask:0xf bank_mask:0xf// 0000000086CC: 0A7042FA FF015017
	v_mov_b32_e32 v57, v56                                     // 0000000086D4: 7E720338
	v_pk_mul_f32 v[196:197], v[56:57], v[196:197]              // 0000000086D8: D3B140C4 18038938
	v_pk_mul_f32 v[198:199], v[56:57], v[198:199]              // 0000000086E0: D3B140C6 18038D38
	v_pk_mul_f32 v[204:205], v[56:57], v[204:205]              // 0000000086E8: D3B140CC 18039938
	v_pk_mul_f32 v[206:207], v[56:57], v[206:207]              // 0000000086F0: D3B140CE 18039D38
	v_mul_f32_dpp v56, v23, v33 row_newbcast:1 row_mask:0xf bank_mask:0xf// 0000000086F8: 0A7042FA FF015117
	v_mov_b32_e32 v57, v56                                     // 000000008700: 7E720338
	v_pk_mul_f32 v[212:213], v[56:57], v[212:213]              // 000000008704: D3B140D4 1803A938
	v_pk_mul_f32 v[214:215], v[56:57], v[214:215]              // 00000000870C: D3B140D6 1803AD38
	v_pk_mul_f32 v[220:221], v[56:57], v[220:221]              // 000000008714: D3B140DC 1803B938
	v_pk_mul_f32 v[222:223], v[56:57], v[222:223]              // 00000000871C: D3B140DE 1803BD38
	s_waitcnt vmcnt(29)                                        // 000000008724: BF8C4F7D
	v_mfma_f32_16x16x32_fp8_fp8 v[160:163], a[32:33], v[136:137], 0// 000000008728: D3F300A0 0A031120
	buffer_load_dwordx4 a[96:99], v48, s[12:15], 0 offen       // 000000008730: E05C1000 80836030
	v_mfma_f32_16x16x32_fp8_fp8 v[160:163], a[34:35], v[138:139], v[160:163]// 000000008738: D3F300A0 0E831522
	ds_write_b64 v4, v[224:225] offset:38144                   // 000000008740: D89A9500 0000E004
	v_mfma_f32_16x16x32_fp8_fp8 v[164:167], a[32:33], v[152:153], 0// 000000008748: D3F300A4 0A033120
	v_mfma_f32_16x16x32_fp8_fp8 v[164:167], a[34:35], v[154:155], v[164:167]// 000000008750: D3F300A4 0E933522
	ds_write_b64 v4, v[226:227] offset:46848                   // 000000008758: D89AB700 0000E204
	v_mfma_f32_16x16x32_fp8_fp8 v[168:171], a[36:37], v[136:137], 0// 000000008760: D3F300A8 0A031124
	buffer_load_dwordx4 a[100:103], v49, s[12:15], 0 offen     // 000000008768: E05C1000 80836431
	v_mfma_f32_16x16x32_fp8_fp8 v[168:171], a[38:39], v[138:139], v[168:171]// 000000008770: D3F300A8 0EA31526
	ds_write_b64 v4, v[228:229] offset:40320                   // 000000008778: D89A9D80 0000E404
	v_mfma_f32_16x16x32_fp8_fp8 v[172:175], a[36:37], v[152:153], 0// 000000008780: D3F300AC 0A033124
	v_mfma_f32_16x16x32_fp8_fp8 v[172:175], a[38:39], v[154:155], v[172:175]// 000000008788: D3F300AC 0EB33526
	ds_write_b64 v4, v[230:231] offset:49024                   // 000000008790: D89ABF80 0000E604
	v_mfma_f32_16x16x32_fp8_fp8 v[176:179], a[40:41], v[136:137], 0// 000000008798: D3F300B0 0A031128
	buffer_load_dwordx4 a[104:107], v50, s[12:15], 0 offen     // 0000000087A0: E05C1000 80836832
	v_mfma_f32_16x16x32_fp8_fp8 v[176:179], a[42:43], v[138:139], v[176:179]// 0000000087A8: D3F300B0 0EC3152A
	ds_write_b64 v4, v[232:233] offset:42496                   // 0000000087B0: D89AA600 0000E804
	v_mfma_f32_16x16x32_fp8_fp8 v[180:183], a[40:41], v[152:153], 0// 0000000087B8: D3F300B4 0A033128
	v_mfma_f32_16x16x32_fp8_fp8 v[180:183], a[42:43], v[154:155], v[180:183]// 0000000087C0: D3F300B4 0ED3352A
	ds_write_b64 v4, v[234:235] offset:51200                   // 0000000087C8: D89AC800 0000EA04
	v_mfma_f32_16x16x32_fp8_fp8 v[184:187], a[44:45], v[136:137], 0// 0000000087D0: D3F300B8 0A03112C
	buffer_load_dwordx4 a[108:111], v51, s[12:15], 0 offen     // 0000000087D8: E05C1000 80836C33
	s_add_u32 s12, s78, s12                                    // 0000000087E0: 800C0C4E
	s_addc_u32 s13, 0, s13                                     // 0000000087E4: 820D0D80
	v_mfma_f32_16x16x32_fp8_fp8 v[184:187], a[46:47], v[138:139], v[184:187]// 0000000087E8: D3F300B8 0EE3152E
	ds_write_b64 v4, v[236:237] offset:44672                   // 0000000087F0: D89AAE80 0000EC04
	v_mfma_f32_16x16x32_fp8_fp8 v[188:191], a[44:45], v[152:153], 0// 0000000087F8: D3F300BC 0A03312C
	v_mfma_f32_16x16x32_fp8_fp8 v[188:191], a[46:47], v[154:155], v[188:191]// 000000008800: D3F300BC 0EF3352E
	ds_write_b64 v4, v[238:239] offset:53376                   // 000000008808: D89AD080 0000EE04
	s_waitcnt vmcnt(29)                                        // 000000008810: BF8C4F7D
	v_mfma_f32_16x16x32_fp8_fp8 v[160:163], a[48:49], v[140:141], v[160:163]// 000000008814: D3F300A0 0E831930
	buffer_load_dwordx4 a[112:115], v48, s[12:15], 0 offen     // 00000000881C: E05C1000 80837030
	v_mfma_f32_16x16x32_fp8_fp8 v[160:163], a[50:51], v[142:143], v[160:163]// 000000008824: D3F300A0 0E831D32
	v_mfma_f32_16x16x32_fp8_fp8 v[164:167], a[48:49], v[156:157], v[164:167]// 00000000882C: D3F300A4 0E933930
	v_mfma_f32_16x16x32_fp8_fp8 v[164:167], a[50:51], v[158:159], v[164:167]// 000000008834: D3F300A4 0E933D32
	v_mfma_f32_16x16x32_fp8_fp8 v[168:171], a[52:53], v[140:141], v[168:171]// 00000000883C: D3F300A8 0EA31934
	buffer_load_dwordx4 a[116:119], v49, s[12:15], 0 offen     // 000000008844: E05C1000 80837431
	v_mfma_f32_16x16x32_fp8_fp8 v[168:171], a[54:55], v[142:143], v[168:171]// 00000000884C: D3F300A8 0EA31D36
	v_mfma_f32_16x16x32_fp8_fp8 v[172:175], a[52:53], v[156:157], v[172:175]// 000000008854: D3F300AC 0EB33934
	v_mfma_f32_16x16x32_fp8_fp8 v[172:175], a[54:55], v[158:159], v[172:175]// 00000000885C: D3F300AC 0EB33D36
	v_mfma_f32_16x16x32_fp8_fp8 v[176:179], a[56:57], v[140:141], v[176:179]// 000000008864: D3F300B0 0EC31938
	buffer_load_dwordx4 a[120:123], v50, s[12:15], 0 offen     // 00000000886C: E05C1000 80837832
	v_mfma_f32_16x16x32_fp8_fp8 v[176:179], a[58:59], v[142:143], v[176:179]// 000000008874: D3F300B0 0EC31D3A
	v_mfma_f32_16x16x32_fp8_fp8 v[180:183], a[56:57], v[156:157], v[180:183]// 00000000887C: D3F300B4 0ED33938
	v_mfma_f32_16x16x32_fp8_fp8 v[180:183], a[58:59], v[158:159], v[180:183]// 000000008884: D3F300B4 0ED33D3A
	v_mfma_f32_16x16x32_fp8_fp8 v[184:187], a[60:61], v[140:141], v[184:187]// 00000000888C: D3F300B8 0EE3193C
	buffer_load_dwordx4 a[124:127], v51, s[12:15], 0 offen     // 000000008894: E05C1000 80837C33
	v_mfma_f32_16x16x32_fp8_fp8 v[184:187], a[62:63], v[142:143], v[184:187]// 00000000889C: D3F300B8 0EE31D3E
	v_mfma_f32_16x16x32_fp8_fp8 v[188:191], a[60:61], v[156:157], v[188:191]// 0000000088A4: D3F300BC 0EF3393C
	v_mfma_f32_16x16x32_fp8_fp8 v[188:191], a[62:63], v[158:159], v[188:191]// 0000000088AC: D3F300BC 0EF33D3E
	v_mul_f32_dpp v56, v23, v34 row_newbcast:2 row_mask:0xf bank_mask:0xf// 0000000088B4: 0A7044FA FF015217
	v_mov_b32_e32 v57, v56                                     // 0000000088BC: 7E720338
	v_pk_fma_f32 v[192:193], v[160:161], v[56:57], v[192:193]  // 0000000088C0: D3B040C0 1F0271A0
	v_pk_fma_f32 v[194:195], v[162:163], v[56:57], v[194:195]  // 0000000088C8: D3B040C2 1F0A71A2
	v_pk_fma_f32 v[200:201], v[168:169], v[56:57], v[200:201]  // 0000000088D0: D3B040C8 1F2271A8
	v_pk_fma_f32 v[202:203], v[170:171], v[56:57], v[202:203]  // 0000000088D8: D3B040CA 1F2A71AA
	v_mul_f32_dpp v56, v23, v34 row_newbcast:3 row_mask:0xf bank_mask:0xf// 0000000088E0: 0A7044FA FF015317
	v_mov_b32_e32 v57, v56                                     // 0000000088E8: 7E720338
	v_pk_fma_f32 v[208:209], v[176:177], v[56:57], v[208:209]  // 0000000088EC: D3B040D0 1F4271B0
	v_pk_fma_f32 v[210:211], v[178:179], v[56:57], v[210:211]  // 0000000088F4: D3B040D2 1F4A71B2
	v_pk_fma_f32 v[216:217], v[184:185], v[56:57], v[216:217]  // 0000000088FC: D3B040D8 1F6271B8
	v_pk_fma_f32 v[218:219], v[186:187], v[56:57], v[218:219]  // 000000008904: D3B040DA 1F6A71BA
	v_mul_f32_dpp v56, v23, v35 row_newbcast:2 row_mask:0xf bank_mask:0xf// 00000000890C: 0A7046FA FF015217
	v_mov_b32_e32 v57, v56                                     // 000000008914: 7E720338
	v_pk_fma_f32 v[196:197], v[164:165], v[56:57], v[196:197]  // 000000008918: D3B040C4 1F1271A4
	v_pk_fma_f32 v[198:199], v[166:167], v[56:57], v[198:199]  // 000000008920: D3B040C6 1F1A71A6
	v_pk_fma_f32 v[204:205], v[172:173], v[56:57], v[204:205]  // 000000008928: D3B040CC 1F3271AC
	v_pk_fma_f32 v[206:207], v[174:175], v[56:57], v[206:207]  // 000000008930: D3B040CE 1F3A71AE
	v_mul_f32_dpp v56, v23, v35 row_newbcast:3 row_mask:0xf bank_mask:0xf// 000000008938: 0A7046FA FF015317
	v_mov_b32_e32 v57, v56                                     // 000000008940: 7E720338
	v_pk_fma_f32 v[212:213], v[180:181], v[56:57], v[212:213]  // 000000008944: D3B040D4 1F5271B4
	v_pk_fma_f32 v[214:215], v[182:183], v[56:57], v[214:215]  // 00000000894C: D3B040D6 1F5A71B6
	v_pk_fma_f32 v[220:221], v[188:189], v[56:57], v[220:221]  // 000000008954: D3B040DC 1F7271BC
	v_pk_fma_f32 v[222:223], v[190:191], v[56:57], v[222:223]  // 00000000895C: D3B040DE 1F7A71BE
	s_add_u32 s60, 0x200, s80                                  // 000000008964: 803C50FF 00000200
	s_cmp_lt_u32 s60, s81                                      // 00000000896C: BF0A513C
	s_cselect_b32 s56, s56, 0                                  // 000000008970: 85388038
	s_cselect_b32 s78, s78, 0                                  // 000000008974: 854E804E
	s_cselect_b32 s79, s79, 0                                  // 000000008978: 854F804F
	s_add_u32 s12, s56, s12                                    // 00000000897C: 800C0C38
	s_addc_u32 s13, 0, s13                                     // 000000008980: 820D0D80
	s_add_u32 s16, s79, s16                                    // 000000008984: 8010104F
	s_addc_u32 s17, 0, s17                                     // 000000008988: 82111180
	v_mov_b32_e32 v56, v25                                     // 00000000898C: 7E700319
	v_mov_b32_e32 v57, v25                                     // 000000008990: 7E720319
	v_pk_mul_f32 v[192:193], v[56:57], v[192:193]              // 000000008994: D3B140C0 18038138
	v_pk_mul_f32 v[194:195], v[56:57], v[194:195]              // 00000000899C: D3B140C2 18038538
	v_pk_mul_f32 v[200:201], v[56:57], v[200:201]              // 0000000089A4: D3B140C8 18039138
	v_pk_mul_f32 v[202:203], v[56:57], v[202:203]              // 0000000089AC: D3B140CA 18039538
	v_pk_mul_f32 v[208:209], v[56:57], v[208:209]              // 0000000089B4: D3B140D0 1803A138
	v_pk_mul_f32 v[210:211], v[56:57], v[210:211]              // 0000000089BC: D3B140D2 1803A538
	v_pk_mul_f32 v[216:217], v[56:57], v[216:217]              // 0000000089C4: D3B140D8 1803B138
	v_pk_mul_f32 v[218:219], v[56:57], v[218:219]              // 0000000089CC: D3B140DA 1803B538
	v_mov_b32_e32 v56, v26                                     // 0000000089D4: 7E70031A
	v_mov_b32_e32 v57, v26                                     // 0000000089D8: 7E72031A
	v_pk_mul_f32 v[196:197], v[56:57], v[196:197]              // 0000000089DC: D3B140C4 18038938
	v_pk_mul_f32 v[198:199], v[56:57], v[198:199]              // 0000000089E4: D3B140C6 18038D38
	v_pk_mul_f32 v[204:205], v[56:57], v[204:205]              // 0000000089EC: D3B140CC 18039938
	v_pk_mul_f32 v[206:207], v[56:57], v[206:207]              // 0000000089F4: D3B140CE 18039D38
	v_pk_mul_f32 v[212:213], v[56:57], v[212:213]              // 0000000089FC: D3B140D4 1803A938
	v_pk_mul_f32 v[214:215], v[56:57], v[214:215]              // 000000008A04: D3B140D6 1803AD38
	v_pk_mul_f32 v[220:221], v[56:57], v[220:221]              // 000000008A0C: D3B140DC 1803B938
	v_pk_mul_f32 v[222:223], v[56:57], v[222:223]              // 000000008A14: D3B140DE 1803BD38
	v_cvt_pkrtz_f16_f32 v192, v192, v193                       // 000000008A1C: D29600C0 000383C0
	v_cvt_pkrtz_f16_f32 v193, v194, v195                       // 000000008A24: D29600C1 000387C2
	v_cvt_pkrtz_f16_f32 v194, v196, v197                       // 000000008A2C: D29600C2 00038BC4
	v_cvt_pkrtz_f16_f32 v195, v198, v199                       // 000000008A34: D29600C3 00038FC6
	v_cvt_pkrtz_f16_f32 v196, v200, v201                       // 000000008A3C: D29600C4 000393C8
	v_cvt_pkrtz_f16_f32 v197, v202, v203                       // 000000008A44: D29600C5 000397CA
	v_cvt_pkrtz_f16_f32 v198, v204, v205                       // 000000008A4C: D29600C6 00039BCC
	v_cvt_pkrtz_f16_f32 v199, v206, v207                       // 000000008A54: D29600C7 00039FCE
	v_cvt_pkrtz_f16_f32 v200, v208, v209                       // 000000008A5C: D29600C8 0003A3D0
	v_cvt_pkrtz_f16_f32 v201, v210, v211                       // 000000008A64: D29600C9 0003A7D2
	v_cvt_pkrtz_f16_f32 v202, v212, v213                       // 000000008A6C: D29600CA 0003ABD4
	v_cvt_pkrtz_f16_f32 v203, v214, v215                       // 000000008A74: D29600CB 0003AFD6
	v_cvt_pkrtz_f16_f32 v204, v216, v217                       // 000000008A7C: D29600CC 0003B3D8
	v_cvt_pkrtz_f16_f32 v205, v218, v219                       // 000000008A84: D29600CD 0003B7DA
	v_cvt_pkrtz_f16_f32 v206, v220, v221                       // 000000008A8C: D29600CE 0003BBDC
	v_cvt_pkrtz_f16_f32 v207, v222, v223                       // 000000008A94: D29600CF 0003BFDE
	s_cmp_ge_u32 s80, 0x200                                    // 000000008A9C: BF09FF50 00000200
	s_cselect_b32 s59, 0x200, s59                              // 000000008AA4: 853B3BFF 00000200
	s_mov_b64 exec, s[20:21]                                   // 000000008AAC: BEFE0114
	global_atomic_pk_add_f16 v80, v64, s[8:9]                  // 000000008AB0: DD388000 00084050
	s_mov_b64 exec, s[36:37]                                   // 000000008AB8: BEFE0124
	s_mov_b64 exec, s[20:21]                                   // 000000008ABC: BEFE0114
	global_atomic_pk_add_f16 v80, v65, s[8:9] offset:256       // 000000008AC0: DD388100 00084150
	s_mov_b64 exec, s[36:37]                                   // 000000008AC8: BEFE0124
	s_mov_b64 exec, s[22:23]                                   // 000000008ACC: BEFE0116
	global_atomic_pk_add_f16 v82, v66, s[8:9]                  // 000000008AD0: DD388000 00084252
	s_mov_b64 exec, s[36:37]                                   // 000000008AD8: BEFE0124
	s_mov_b64 exec, s[22:23]                                   // 000000008ADC: BEFE0116
	global_atomic_pk_add_f16 v82, v67, s[8:9] offset:256       // 000000008AE0: DD388100 00084352
	s_mov_b64 exec, s[36:37]                                   // 000000008AE8: BEFE0124
	s_mov_b64 exec, s[24:25]                                   // 000000008AEC: BEFE0118
	global_atomic_pk_add_f16 v84, v68, s[8:9]                  // 000000008AF0: DD388000 00084454
	s_mov_b64 exec, s[36:37]                                   // 000000008AF8: BEFE0124
	s_mov_b64 exec, s[24:25]                                   // 000000008AFC: BEFE0118
	global_atomic_pk_add_f16 v84, v69, s[8:9] offset:256       // 000000008B00: DD388100 00084554
	s_mov_b64 exec, s[36:37]                                   // 000000008B08: BEFE0124
	s_mov_b64 exec, s[26:27]                                   // 000000008B0C: BEFE011A
	global_atomic_pk_add_f16 v86, v70, s[8:9]                  // 000000008B10: DD388000 00084656
	s_mov_b64 exec, s[36:37]                                   // 000000008B18: BEFE0124
	s_mov_b64 exec, s[26:27]                                   // 000000008B1C: BEFE011A
	global_atomic_pk_add_f16 v86, v71, s[8:9] offset:256       // 000000008B20: DD388100 00084756
	s_mov_b64 exec, s[36:37]                                   // 000000008B28: BEFE0124
	s_mov_b64 exec, s[28:29]                                   // 000000008B2C: BEFE011C
	global_atomic_pk_add_f16 v88, v72, s[8:9]                  // 000000008B30: DD388000 00084858
	s_mov_b64 exec, s[36:37]                                   // 000000008B38: BEFE0124
	s_mov_b64 exec, s[28:29]                                   // 000000008B3C: BEFE011C
	global_atomic_pk_add_f16 v88, v73, s[8:9] offset:256       // 000000008B40: DD388100 00084958
	s_mov_b64 exec, s[36:37]                                   // 000000008B48: BEFE0124
	s_mov_b64 exec, s[30:31]                                   // 000000008B4C: BEFE011E
	global_atomic_pk_add_f16 v90, v74, s[8:9]                  // 000000008B50: DD388000 00084A5A
	s_mov_b64 exec, s[36:37]                                   // 000000008B58: BEFE0124
	s_mov_b64 exec, s[30:31]                                   // 000000008B5C: BEFE011E
	global_atomic_pk_add_f16 v90, v75, s[8:9] offset:256       // 000000008B60: DD388100 00084B5A
	s_mov_b64 exec, s[36:37]                                   // 000000008B68: BEFE0124
	s_mov_b64 exec, s[32:33]                                   // 000000008B6C: BEFE0120
	global_atomic_pk_add_f16 v92, v76, s[8:9]                  // 000000008B70: DD388000 00084C5C
	s_mov_b64 exec, s[36:37]                                   // 000000008B78: BEFE0124
	s_mov_b64 exec, s[32:33]                                   // 000000008B7C: BEFE0120
	global_atomic_pk_add_f16 v92, v77, s[8:9] offset:256       // 000000008B80: DD388100 00084D5C
	s_mov_b64 exec, s[36:37]                                   // 000000008B88: BEFE0124
	s_mov_b64 exec, s[34:35]                                   // 000000008B8C: BEFE0122
	global_atomic_pk_add_f16 v94, v78, s[8:9]                  // 000000008B90: DD388000 00084E5E
	s_mov_b64 exec, s[36:37]                                   // 000000008B98: BEFE0124
	s_mov_b64 exec, s[34:35]                                   // 000000008B9C: BEFE0122
	global_atomic_pk_add_f16 v94, v79, s[8:9] offset:256       // 000000008BA0: DD388100 00084F5E
	s_mov_b64 exec, s[36:37]                                   // 000000008BA8: BEFE0124
	s_add_u32 s8, s59, s8                                      // 000000008BAC: 8008083B
	s_addc_u32 s9, 0, s9                                       // 000000008BB0: 82090980
	s_addk_i32 s80, 0x100                                      // 000000008BB4: B7500100
	s_cmp_lt_i32 s80, s81                                      // 000000008BB8: BF045150
	s_cbranch_scc0 label_0E15                                  // 000000008BBC: BF84F6A5
	s_waitcnt vmcnt(28) lgkmcnt(0)                             // 000000008BC0: BF8C407C
	s_barrier                                                  // 000000008BC4: BF8A0000
	v_mfma_f32_16x16x32_fp8_fp8 v[224:227], a[64:65], v[128:129], 0// 000000008BC8: D3F300E0 0A030140
	buffer_load_dwordx4 a[0:3], v48, s[12:15], 0 offen         // 000000008BD0: E05C1000 80830030
	v_mfma_f32_16x16x32_fp8_fp8 v[224:227], a[66:67], v[130:131], v[224:227]// 000000008BD8: D3F300E0 0F830542
	ds_read_b32 v64, v5 offset:38144                           // 000000008BE0: D86C9500 40000005
	ds_read_b32 v65, v5 offset:42496                           // 000000008BE8: D86CA600 41000005
	v_mfma_f32_16x16x32_fp8_fp8 v[228:231], a[64:65], v[144:145], 0// 000000008BF0: D3F300E4 0A032140
	buffer_load_dword v23, v6, s[16:19], 0 offen               // 000000008BF8: E0501000 80041706
	v_mfma_f32_16x16x32_fp8_fp8 v[228:231], a[66:67], v[146:147], v[228:231]// 000000008C00: D3F300E4 0F932542
	ds_read_b32 v66, v5 offset:38176                           // 000000008C08: D86C9520 42000005
	ds_read_b32 v67, v5 offset:42528                           // 000000008C10: D86CA620 43000005
	v_mfma_f32_16x16x32_fp8_fp8 v[232:235], a[68:69], v[128:129], 0// 000000008C18: D3F300E8 0A030144
	buffer_load_dwordx4 a[4:7], v49, s[12:15], 0 offen         // 000000008C20: E05C1000 80830431
	v_mfma_f32_16x16x32_fp8_fp8 v[232:235], a[70:71], v[130:131], v[232:235]// 000000008C28: D3F300E8 0FA30546
	ds_read_b32 v68, v5 offset:38208                           // 000000008C30: D86C9540 44000005
	ds_read_b32 v69, v5 offset:42560                           // 000000008C38: D86CA640 45000005
	v_mfma_f32_16x16x32_fp8_fp8 v[236:239], a[68:69], v[144:145], 0// 000000008C40: D3F300EC 0A032144
	v_mfma_f32_16x16x32_fp8_fp8 v[236:239], a[70:71], v[146:147], v[236:239]// 000000008C48: D3F300EC 0FB32546
	ds_read_b32 v70, v5 offset:38240                           // 000000008C50: D86C9560 46000005
	ds_read_b32 v71, v5 offset:42592                           // 000000008C58: D86CA660 47000005
	v_mfma_f32_16x16x32_fp8_fp8 v[240:243], a[72:73], v[128:129], 0// 000000008C60: D3F300F0 0A030148
	buffer_load_dwordx4 a[8:11], v50, s[12:15], 0 offen        // 000000008C68: E05C1000 80830832
	v_mfma_f32_16x16x32_fp8_fp8 v[240:243], a[74:75], v[130:131], v[240:243]// 000000008C70: D3F300F0 0FC3054A
	ds_read_b32 v72, v5 offset:46848                           // 000000008C78: D86CB700 48000005
	ds_read_b32 v73, v5 offset:51200                           // 000000008C80: D86CC800 49000005
	v_mfma_f32_16x16x32_fp8_fp8 v[244:247], a[72:73], v[144:145], 0// 000000008C88: D3F300F4 0A032148
	v_mfma_f32_16x16x32_fp8_fp8 v[244:247], a[74:75], v[146:147], v[244:247]// 000000008C90: D3F300F4 0FD3254A
	ds_read_b32 v74, v5 offset:46880                           // 000000008C98: D86CB720 4A000005
	ds_read_b32 v75, v5 offset:51232                           // 000000008CA0: D86CC820 4B000005
	v_mfma_f32_16x16x32_fp8_fp8 v[248:251], a[76:77], v[128:129], 0// 000000008CA8: D3F300F8 0A03014C
	buffer_load_dwordx4 a[12:15], v51, s[12:15], 0 offen       // 000000008CB0: E05C1000 80830C33
	s_add_u32 s12, s78, s12                                    // 000000008CB8: 800C0C4E
	s_addc_u32 s13, 0, s13                                     // 000000008CBC: 820D0D80
	v_mfma_f32_16x16x32_fp8_fp8 v[248:251], a[78:79], v[130:131], v[248:251]// 000000008CC0: D3F300F8 0FE3054E
	ds_read_b32 v76, v5 offset:46912                           // 000000008CC8: D86CB740 4C000005
	ds_read_b32 v77, v5 offset:51264                           // 000000008CD0: D86CC840 4D000005
	v_mfma_f32_16x16x32_fp8_fp8 v[252:255], a[76:77], v[144:145], 0// 000000008CD8: D3F300FC 0A03214C
	v_mfma_f32_16x16x32_fp8_fp8 v[252:255], a[78:79], v[146:147], v[252:255]// 000000008CE0: D3F300FC 0FF3254E
	ds_read_b32 v78, v5 offset:46944                           // 000000008CE8: D86CB760 4E000005
	ds_read_b32 v79, v5 offset:51296                           // 000000008CF0: D86CC860 4F000005
	s_waitcnt vmcnt(29)                                        // 000000008CF8: BF8C4F7D
	v_mfma_f32_16x16x32_fp8_fp8 v[224:227], a[80:81], v[132:133], v[224:227]// 000000008CFC: D3F300E0 0F830950
	buffer_load_dwordx4 a[16:19], v48, s[12:15], 0 offen       // 000000008D04: E05C1000 80831030
	v_mfma_f32_16x16x32_fp8_fp8 v[224:227], a[82:83], v[134:135], v[224:227]// 000000008D0C: D3F300E0 0F830D52
	v_mfma_f32_16x16x32_fp8_fp8 v[228:231], a[80:81], v[148:149], v[228:231]// 000000008D14: D3F300E4 0F932950
	v_mfma_f32_16x16x32_fp8_fp8 v[228:231], a[82:83], v[150:151], v[228:231]// 000000008D1C: D3F300E4 0F932D52
	v_mfma_f32_16x16x32_fp8_fp8 v[232:235], a[84:85], v[132:133], v[232:235]// 000000008D24: D3F300E8 0FA30954
	buffer_load_dwordx4 a[20:23], v49, s[12:15], 0 offen       // 000000008D2C: E05C1000 80831431
	v_mfma_f32_16x16x32_fp8_fp8 v[232:235], a[86:87], v[134:135], v[232:235]// 000000008D34: D3F300E8 0FA30D56
	v_mfma_f32_16x16x32_fp8_fp8 v[236:239], a[84:85], v[148:149], v[236:239]// 000000008D3C: D3F300EC 0FB32954
	v_mfma_f32_16x16x32_fp8_fp8 v[236:239], a[86:87], v[150:151], v[236:239]// 000000008D44: D3F300EC 0FB32D56
	v_mfma_f32_16x16x32_fp8_fp8 v[240:243], a[88:89], v[132:133], v[240:243]// 000000008D4C: D3F300F0 0FC30958
	buffer_load_dwordx4 a[24:27], v50, s[12:15], 0 offen       // 000000008D54: E05C1000 80831832
	v_mfma_f32_16x16x32_fp8_fp8 v[240:243], a[90:91], v[134:135], v[240:243]// 000000008D5C: D3F300F0 0FC30D5A
	v_mfma_f32_16x16x32_fp8_fp8 v[244:247], a[88:89], v[148:149], v[244:247]// 000000008D64: D3F300F4 0FD32958
	v_mfma_f32_16x16x32_fp8_fp8 v[244:247], a[90:91], v[150:151], v[244:247]// 000000008D6C: D3F300F4 0FD32D5A
	v_mfma_f32_16x16x32_fp8_fp8 v[248:251], a[92:93], v[132:133], v[248:251]// 000000008D74: D3F300F8 0FE3095C
	buffer_load_dwordx4 a[28:31], v51, s[12:15], 0 offen       // 000000008D7C: E05C1000 80831C33
	s_add_u32 s12, s78, s12                                    // 000000008D84: 800C0C4E
	s_addc_u32 s13, 0, s13                                     // 000000008D88: 820D0D80
	v_mfma_f32_16x16x32_fp8_fp8 v[248:251], a[94:95], v[134:135], v[248:251]// 000000008D8C: D3F300F8 0FE30D5E
	v_mfma_f32_16x16x32_fp8_fp8 v[252:255], a[92:93], v[148:149], v[252:255]// 000000008D94: D3F300FC 0FF3295C
	v_mfma_f32_16x16x32_fp8_fp8 v[252:255], a[94:95], v[150:151], v[252:255]// 000000008D9C: D3F300FC 0FF32D5E
	v_mul_f32_dpp v56, v24, v32 row_newbcast:0 row_mask:0xf bank_mask:0xf// 000000008DA4: 0A7040FA FF015018
	v_mov_b32_e32 v57, v56                                     // 000000008DAC: 7E720338
	v_pk_mul_f32 v[224:225], v[56:57], v[224:225]              // 000000008DB0: D3B140E0 1803C138
	v_pk_mul_f32 v[226:227], v[56:57], v[226:227]              // 000000008DB8: D3B140E2 1803C538
	v_pk_mul_f32 v[232:233], v[56:57], v[232:233]              // 000000008DC0: D3B140E8 1803D138
	v_pk_mul_f32 v[234:235], v[56:57], v[234:235]              // 000000008DC8: D3B140EA 1803D538
	v_mul_f32_dpp v56, v24, v32 row_newbcast:1 row_mask:0xf bank_mask:0xf// 000000008DD0: 0A7040FA FF015118
	v_mov_b32_e32 v57, v56                                     // 000000008DD8: 7E720338
	v_pk_mul_f32 v[240:241], v[56:57], v[240:241]              // 000000008DDC: D3B140F0 1803E138
	v_pk_mul_f32 v[242:243], v[56:57], v[242:243]              // 000000008DE4: D3B140F2 1803E538
	v_pk_mul_f32 v[248:249], v[56:57], v[248:249]              // 000000008DEC: D3B140F8 1803F138
	v_pk_mul_f32 v[250:251], v[56:57], v[250:251]              // 000000008DF4: D3B140FA 1803F538
	v_mul_f32_dpp v56, v24, v33 row_newbcast:0 row_mask:0xf bank_mask:0xf// 000000008DFC: 0A7042FA FF015018
	v_mov_b32_e32 v57, v56                                     // 000000008E04: 7E720338
	v_pk_mul_f32 v[228:229], v[56:57], v[228:229]              // 000000008E08: D3B140E4 1803C938
	v_pk_mul_f32 v[230:231], v[56:57], v[230:231]              // 000000008E10: D3B140E6 1803CD38
	v_pk_mul_f32 v[236:237], v[56:57], v[236:237]              // 000000008E18: D3B140EC 1803D938
	v_pk_mul_f32 v[238:239], v[56:57], v[238:239]              // 000000008E20: D3B140EE 1803DD38
	v_mul_f32_dpp v56, v24, v33 row_newbcast:1 row_mask:0xf bank_mask:0xf// 000000008E28: 0A7042FA FF015118
	v_mov_b32_e32 v57, v56                                     // 000000008E30: 7E720338
	v_pk_mul_f32 v[244:245], v[56:57], v[244:245]              // 000000008E34: D3B140F4 1803E938
	v_pk_mul_f32 v[246:247], v[56:57], v[246:247]              // 000000008E3C: D3B140F6 1803ED38
	v_pk_mul_f32 v[252:253], v[56:57], v[252:253]              // 000000008E44: D3B140FC 1803F938
	v_pk_mul_f32 v[254:255], v[56:57], v[254:255]              // 000000008E4C: D3B140FE 1803FD38
	s_waitcnt vmcnt(29)                                        // 000000008E54: BF8C4F7D
	v_mfma_f32_16x16x32_fp8_fp8 v[160:163], a[96:97], v[136:137], 0// 000000008E58: D3F300A0 0A031160
	buffer_load_dwordx4 a[32:35], v48, s[12:15], 0 offen       // 000000008E60: E05C1000 80832030
	v_mfma_f32_16x16x32_fp8_fp8 v[160:163], a[98:99], v[138:139], v[160:163]// 000000008E68: D3F300A0 0E831562
	ds_write_b64 v4, v[192:193] offset:20736                   // 000000008E70: D89A5100 0000C004
	v_mfma_f32_16x16x32_fp8_fp8 v[164:167], a[96:97], v[152:153], 0// 000000008E78: D3F300A4 0A033160
	v_mfma_f32_16x16x32_fp8_fp8 v[164:167], a[98:99], v[154:155], v[164:167]// 000000008E80: D3F300A4 0E933562
	ds_write_b64 v4, v[194:195] offset:29440                   // 000000008E88: D89A7300 0000C204
	v_mfma_f32_16x16x32_fp8_fp8 v[168:171], a[100:101], v[136:137], 0// 000000008E90: D3F300A8 0A031164
	buffer_load_dwordx4 a[36:39], v49, s[12:15], 0 offen       // 000000008E98: E05C1000 80832431
	v_mfma_f32_16x16x32_fp8_fp8 v[168:171], a[102:103], v[138:139], v[168:171]// 000000008EA0: D3F300A8 0EA31566
	ds_write_b64 v4, v[196:197] offset:22912                   // 000000008EA8: D89A5980 0000C404
	v_mfma_f32_16x16x32_fp8_fp8 v[172:175], a[100:101], v[152:153], 0// 000000008EB0: D3F300AC 0A033164
	v_mfma_f32_16x16x32_fp8_fp8 v[172:175], a[102:103], v[154:155], v[172:175]// 000000008EB8: D3F300AC 0EB33566
	ds_write_b64 v4, v[198:199] offset:31616                   // 000000008EC0: D89A7B80 0000C604
	v_mfma_f32_16x16x32_fp8_fp8 v[176:179], a[104:105], v[136:137], 0// 000000008EC8: D3F300B0 0A031168
	buffer_load_dwordx4 a[40:43], v50, s[12:15], 0 offen       // 000000008ED0: E05C1000 80832832
	v_mfma_f32_16x16x32_fp8_fp8 v[176:179], a[106:107], v[138:139], v[176:179]// 000000008ED8: D3F300B0 0EC3156A
	ds_write_b64 v4, v[200:201] offset:25088                   // 000000008EE0: D89A6200 0000C804
	v_mfma_f32_16x16x32_fp8_fp8 v[180:183], a[104:105], v[152:153], 0// 000000008EE8: D3F300B4 0A033168
	v_mfma_f32_16x16x32_fp8_fp8 v[180:183], a[106:107], v[154:155], v[180:183]// 000000008EF0: D3F300B4 0ED3356A
	ds_write_b64 v4, v[202:203] offset:33792                   // 000000008EF8: D89A8400 0000CA04
	v_mfma_f32_16x16x32_fp8_fp8 v[184:187], a[108:109], v[136:137], 0// 000000008F00: D3F300B8 0A03116C
	buffer_load_dwordx4 a[44:47], v51, s[12:15], 0 offen       // 000000008F08: E05C1000 80832C33
	s_add_u32 s12, s78, s12                                    // 000000008F10: 800C0C4E
	s_addc_u32 s13, 0, s13                                     // 000000008F14: 820D0D80
	v_mfma_f32_16x16x32_fp8_fp8 v[184:187], a[110:111], v[138:139], v[184:187]// 000000008F18: D3F300B8 0EE3156E
	ds_write_b64 v4, v[204:205] offset:27264                   // 000000008F20: D89A6A80 0000CC04
	v_mfma_f32_16x16x32_fp8_fp8 v[188:191], a[108:109], v[152:153], 0// 000000008F28: D3F300BC 0A03316C
	v_mfma_f32_16x16x32_fp8_fp8 v[188:191], a[110:111], v[154:155], v[188:191]// 000000008F30: D3F300BC 0EF3356E
	ds_write_b64 v4, v[206:207] offset:35968                   // 000000008F38: D89A8C80 0000CE04
	s_waitcnt vmcnt(29)                                        // 000000008F40: BF8C4F7D
	v_mfma_f32_16x16x32_fp8_fp8 v[160:163], a[112:113], v[140:141], v[160:163]// 000000008F44: D3F300A0 0E831970
	buffer_load_dwordx4 a[48:51], v48, s[12:15], 0 offen       // 000000008F4C: E05C1000 80833030
	v_mfma_f32_16x16x32_fp8_fp8 v[160:163], a[114:115], v[142:143], v[160:163]// 000000008F54: D3F300A0 0E831D72
	v_mfma_f32_16x16x32_fp8_fp8 v[164:167], a[112:113], v[156:157], v[164:167]// 000000008F5C: D3F300A4 0E933970
	v_mfma_f32_16x16x32_fp8_fp8 v[164:167], a[114:115], v[158:159], v[164:167]// 000000008F64: D3F300A4 0E933D72
	v_mfma_f32_16x16x32_fp8_fp8 v[168:171], a[116:117], v[140:141], v[168:171]// 000000008F6C: D3F300A8 0EA31974
	buffer_load_dwordx4 a[52:55], v49, s[12:15], 0 offen       // 000000008F74: E05C1000 80833431
	v_mfma_f32_16x16x32_fp8_fp8 v[168:171], a[118:119], v[142:143], v[168:171]// 000000008F7C: D3F300A8 0EA31D76
	v_mfma_f32_16x16x32_fp8_fp8 v[172:175], a[116:117], v[156:157], v[172:175]// 000000008F84: D3F300AC 0EB33974
	v_mfma_f32_16x16x32_fp8_fp8 v[172:175], a[118:119], v[158:159], v[172:175]// 000000008F8C: D3F300AC 0EB33D76
	v_mfma_f32_16x16x32_fp8_fp8 v[176:179], a[120:121], v[140:141], v[176:179]// 000000008F94: D3F300B0 0EC31978
	buffer_load_dwordx4 a[56:59], v50, s[12:15], 0 offen       // 000000008F9C: E05C1000 80833832
	v_mfma_f32_16x16x32_fp8_fp8 v[176:179], a[122:123], v[142:143], v[176:179]// 000000008FA4: D3F300B0 0EC31D7A
	v_mfma_f32_16x16x32_fp8_fp8 v[180:183], a[120:121], v[156:157], v[180:183]// 000000008FAC: D3F300B4 0ED33978
	v_mfma_f32_16x16x32_fp8_fp8 v[180:183], a[122:123], v[158:159], v[180:183]// 000000008FB4: D3F300B4 0ED33D7A
	v_mfma_f32_16x16x32_fp8_fp8 v[184:187], a[124:125], v[140:141], v[184:187]// 000000008FBC: D3F300B8 0EE3197C
	buffer_load_dwordx4 a[60:63], v51, s[12:15], 0 offen       // 000000008FC4: E05C1000 80833C33
	v_mfma_f32_16x16x32_fp8_fp8 v[184:187], a[126:127], v[142:143], v[184:187]// 000000008FCC: D3F300B8 0EE31D7E
	v_mfma_f32_16x16x32_fp8_fp8 v[188:191], a[124:125], v[156:157], v[188:191]// 000000008FD4: D3F300BC 0EF3397C
	v_mfma_f32_16x16x32_fp8_fp8 v[188:191], a[126:127], v[158:159], v[188:191]// 000000008FDC: D3F300BC 0EF33D7E
	v_mul_f32_dpp v56, v24, v34 row_newbcast:2 row_mask:0xf bank_mask:0xf// 000000008FE4: 0A7044FA FF015218
	v_mov_b32_e32 v57, v56                                     // 000000008FEC: 7E720338
	v_pk_fma_f32 v[224:225], v[160:161], v[56:57], v[224:225]  // 000000008FF0: D3B040E0 1F8271A0
	v_pk_fma_f32 v[226:227], v[162:163], v[56:57], v[226:227]  // 000000008FF8: D3B040E2 1F8A71A2
	v_pk_fma_f32 v[232:233], v[168:169], v[56:57], v[232:233]  // 000000009000: D3B040E8 1FA271A8
	v_pk_fma_f32 v[234:235], v[170:171], v[56:57], v[234:235]  // 000000009008: D3B040EA 1FAA71AA
	v_mul_f32_dpp v56, v24, v34 row_newbcast:3 row_mask:0xf bank_mask:0xf// 000000009010: 0A7044FA FF015318
	v_mov_b32_e32 v57, v56                                     // 000000009018: 7E720338
	v_pk_fma_f32 v[240:241], v[176:177], v[56:57], v[240:241]  // 00000000901C: D3B040F0 1FC271B0
	v_pk_fma_f32 v[242:243], v[178:179], v[56:57], v[242:243]  // 000000009024: D3B040F2 1FCA71B2
	v_pk_fma_f32 v[248:249], v[184:185], v[56:57], v[248:249]  // 00000000902C: D3B040F8 1FE271B8
	v_pk_fma_f32 v[250:251], v[186:187], v[56:57], v[250:251]  // 000000009034: D3B040FA 1FEA71BA
	v_mul_f32_dpp v56, v24, v35 row_newbcast:2 row_mask:0xf bank_mask:0xf// 00000000903C: 0A7046FA FF015218
	v_mov_b32_e32 v57, v56                                     // 000000009044: 7E720338
	v_pk_fma_f32 v[228:229], v[164:165], v[56:57], v[228:229]  // 000000009048: D3B040E4 1F9271A4
	v_pk_fma_f32 v[230:231], v[166:167], v[56:57], v[230:231]  // 000000009050: D3B040E6 1F9A71A6
	v_pk_fma_f32 v[236:237], v[172:173], v[56:57], v[236:237]  // 000000009058: D3B040EC 1FB271AC
	v_pk_fma_f32 v[238:239], v[174:175], v[56:57], v[238:239]  // 000000009060: D3B040EE 1FBA71AE
	v_mul_f32_dpp v56, v24, v35 row_newbcast:3 row_mask:0xf bank_mask:0xf// 000000009068: 0A7046FA FF015318
	v_mov_b32_e32 v57, v56                                     // 000000009070: 7E720338
	v_pk_fma_f32 v[244:245], v[180:181], v[56:57], v[244:245]  // 000000009074: D3B040F4 1FD271B4
	v_pk_fma_f32 v[246:247], v[182:183], v[56:57], v[246:247]  // 00000000907C: D3B040F6 1FDA71B6
	v_pk_fma_f32 v[252:253], v[188:189], v[56:57], v[252:253]  // 000000009084: D3B040FC 1FF271BC
	v_pk_fma_f32 v[254:255], v[190:191], v[56:57], v[254:255]  // 00000000908C: D3B040FE 1FFA71BE
	s_add_u32 s60, 0x200, s80                                  // 000000009094: 803C50FF 00000200
	s_cmp_lt_u32 s60, s81                                      // 00000000909C: BF0A513C
	s_cselect_b32 s56, s56, 0                                  // 0000000090A0: 85388038
	s_cselect_b32 s78, s78, 0                                  // 0000000090A4: 854E804E
	s_cselect_b32 s79, s79, 0                                  // 0000000090A8: 854F804F
	s_add_u32 s12, s56, s12                                    // 0000000090AC: 800C0C38
	s_addc_u32 s13, 0, s13                                     // 0000000090B0: 820D0D80
	s_add_u32 s16, s79, s16                                    // 0000000090B4: 8010104F
	s_addc_u32 s17, 0, s17                                     // 0000000090B8: 82111180
	v_mov_b32_e32 v56, v25                                     // 0000000090BC: 7E700319
	v_mov_b32_e32 v57, v25                                     // 0000000090C0: 7E720319
	v_pk_mul_f32 v[224:225], v[56:57], v[224:225]              // 0000000090C4: D3B140E0 1803C138
	v_pk_mul_f32 v[226:227], v[56:57], v[226:227]              // 0000000090CC: D3B140E2 1803C538
	v_pk_mul_f32 v[232:233], v[56:57], v[232:233]              // 0000000090D4: D3B140E8 1803D138
	v_pk_mul_f32 v[234:235], v[56:57], v[234:235]              // 0000000090DC: D3B140EA 1803D538
	v_pk_mul_f32 v[240:241], v[56:57], v[240:241]              // 0000000090E4: D3B140F0 1803E138
	v_pk_mul_f32 v[242:243], v[56:57], v[242:243]              // 0000000090EC: D3B140F2 1803E538
	v_pk_mul_f32 v[248:249], v[56:57], v[248:249]              // 0000000090F4: D3B140F8 1803F138
	v_pk_mul_f32 v[250:251], v[56:57], v[250:251]              // 0000000090FC: D3B140FA 1803F538
	v_mov_b32_e32 v56, v26                                     // 000000009104: 7E70031A
	v_mov_b32_e32 v57, v26                                     // 000000009108: 7E72031A
	v_pk_mul_f32 v[228:229], v[56:57], v[228:229]              // 00000000910C: D3B140E4 1803C938
	v_pk_mul_f32 v[230:231], v[56:57], v[230:231]              // 000000009114: D3B140E6 1803CD38
	v_pk_mul_f32 v[236:237], v[56:57], v[236:237]              // 00000000911C: D3B140EC 1803D938
	v_pk_mul_f32 v[238:239], v[56:57], v[238:239]              // 000000009124: D3B140EE 1803DD38
	v_pk_mul_f32 v[244:245], v[56:57], v[244:245]              // 00000000912C: D3B140F4 1803E938
	v_pk_mul_f32 v[246:247], v[56:57], v[246:247]              // 000000009134: D3B140F6 1803ED38
	v_pk_mul_f32 v[252:253], v[56:57], v[252:253]              // 00000000913C: D3B140FC 1803F938
	v_pk_mul_f32 v[254:255], v[56:57], v[254:255]              // 000000009144: D3B140FE 1803FD38
	v_cvt_pkrtz_f16_f32 v224, v224, v225                       // 00000000914C: D29600E0 0003C3E0
	v_cvt_pkrtz_f16_f32 v225, v226, v227                       // 000000009154: D29600E1 0003C7E2
	v_cvt_pkrtz_f16_f32 v226, v228, v229                       // 00000000915C: D29600E2 0003CBE4
	v_cvt_pkrtz_f16_f32 v227, v230, v231                       // 000000009164: D29600E3 0003CFE6
	v_cvt_pkrtz_f16_f32 v228, v232, v233                       // 00000000916C: D29600E4 0003D3E8
	v_cvt_pkrtz_f16_f32 v229, v234, v235                       // 000000009174: D29600E5 0003D7EA
	v_cvt_pkrtz_f16_f32 v230, v236, v237                       // 00000000917C: D29600E6 0003DBEC
	v_cvt_pkrtz_f16_f32 v231, v238, v239                       // 000000009184: D29600E7 0003DFEE
	v_cvt_pkrtz_f16_f32 v232, v240, v241                       // 00000000918C: D29600E8 0003E3F0
	v_cvt_pkrtz_f16_f32 v233, v242, v243                       // 000000009194: D29600E9 0003E7F2
	v_cvt_pkrtz_f16_f32 v234, v244, v245                       // 00000000919C: D29600EA 0003EBF4
	v_cvt_pkrtz_f16_f32 v235, v246, v247                       // 0000000091A4: D29600EB 0003EFF6
	v_cvt_pkrtz_f16_f32 v236, v248, v249                       // 0000000091AC: D29600EC 0003F3F8
	v_cvt_pkrtz_f16_f32 v237, v250, v251                       // 0000000091B4: D29600ED 0003F7FA
	v_cvt_pkrtz_f16_f32 v238, v252, v253                       // 0000000091BC: D29600EE 0003FBFC
	v_cvt_pkrtz_f16_f32 v239, v254, v255                       // 0000000091C4: D29600EF 0003FFFE
	s_cmp_ge_u32 s80, 0x200                                    // 0000000091CC: BF09FF50 00000200
	s_cselect_b32 s59, 0x200, s59                              // 0000000091D4: 853B3BFF 00000200
	s_mov_b64 exec, s[20:21]                                   // 0000000091DC: BEFE0114
	global_atomic_pk_add_f16 v80, v64, s[8:9]                  // 0000000091E0: DD388000 00084050
	s_mov_b64 exec, s[36:37]                                   // 0000000091E8: BEFE0124
	s_mov_b64 exec, s[20:21]                                   // 0000000091EC: BEFE0114
	global_atomic_pk_add_f16 v80, v65, s[8:9] offset:256       // 0000000091F0: DD388100 00084150
	s_mov_b64 exec, s[36:37]                                   // 0000000091F8: BEFE0124
	s_mov_b64 exec, s[22:23]                                   // 0000000091FC: BEFE0116
	global_atomic_pk_add_f16 v82, v66, s[8:9]                  // 000000009200: DD388000 00084252
	s_mov_b64 exec, s[36:37]                                   // 000000009208: BEFE0124
	s_mov_b64 exec, s[22:23]                                   // 00000000920C: BEFE0116
	global_atomic_pk_add_f16 v82, v67, s[8:9] offset:256       // 000000009210: DD388100 00084352
	s_mov_b64 exec, s[36:37]                                   // 000000009218: BEFE0124
	s_mov_b64 exec, s[24:25]                                   // 00000000921C: BEFE0118
	global_atomic_pk_add_f16 v84, v68, s[8:9]                  // 000000009220: DD388000 00084454
	s_mov_b64 exec, s[36:37]                                   // 000000009228: BEFE0124
	s_mov_b64 exec, s[24:25]                                   // 00000000922C: BEFE0118
	global_atomic_pk_add_f16 v84, v69, s[8:9] offset:256       // 000000009230: DD388100 00084554
	s_mov_b64 exec, s[36:37]                                   // 000000009238: BEFE0124
	s_mov_b64 exec, s[26:27]                                   // 00000000923C: BEFE011A
	global_atomic_pk_add_f16 v86, v70, s[8:9]                  // 000000009240: DD388000 00084656
	s_mov_b64 exec, s[36:37]                                   // 000000009248: BEFE0124
	s_mov_b64 exec, s[26:27]                                   // 00000000924C: BEFE011A
	global_atomic_pk_add_f16 v86, v71, s[8:9] offset:256       // 000000009250: DD388100 00084756
	s_mov_b64 exec, s[36:37]                                   // 000000009258: BEFE0124
	s_mov_b64 exec, s[28:29]                                   // 00000000925C: BEFE011C
	global_atomic_pk_add_f16 v88, v72, s[8:9]                  // 000000009260: DD388000 00084858
	s_mov_b64 exec, s[36:37]                                   // 000000009268: BEFE0124
	s_mov_b64 exec, s[28:29]                                   // 00000000926C: BEFE011C
	global_atomic_pk_add_f16 v88, v73, s[8:9] offset:256       // 000000009270: DD388100 00084958
	s_mov_b64 exec, s[36:37]                                   // 000000009278: BEFE0124
	s_mov_b64 exec, s[30:31]                                   // 00000000927C: BEFE011E
	global_atomic_pk_add_f16 v90, v74, s[8:9]                  // 000000009280: DD388000 00084A5A
	s_mov_b64 exec, s[36:37]                                   // 000000009288: BEFE0124
	s_mov_b64 exec, s[30:31]                                   // 00000000928C: BEFE011E
	global_atomic_pk_add_f16 v90, v75, s[8:9] offset:256       // 000000009290: DD388100 00084B5A
	s_mov_b64 exec, s[36:37]                                   // 000000009298: BEFE0124
	s_mov_b64 exec, s[32:33]                                   // 00000000929C: BEFE0120
	global_atomic_pk_add_f16 v92, v76, s[8:9]                  // 0000000092A0: DD388000 00084C5C
	s_mov_b64 exec, s[36:37]                                   // 0000000092A8: BEFE0124
	s_mov_b64 exec, s[32:33]                                   // 0000000092AC: BEFE0120
	global_atomic_pk_add_f16 v92, v77, s[8:9] offset:256       // 0000000092B0: DD388100 00084D5C
	s_mov_b64 exec, s[36:37]                                   // 0000000092B8: BEFE0124
	s_mov_b64 exec, s[34:35]                                   // 0000000092BC: BEFE0122
	global_atomic_pk_add_f16 v94, v78, s[8:9]                  // 0000000092C0: DD388000 00084E5E
	s_mov_b64 exec, s[36:37]                                   // 0000000092C8: BEFE0124
	s_mov_b64 exec, s[34:35]                                   // 0000000092CC: BEFE0122
	global_atomic_pk_add_f16 v94, v79, s[8:9] offset:256       // 0000000092D0: DD388100 00084F5E
	s_mov_b64 exec, s[36:37]                                   // 0000000092D8: BEFE0124
	s_add_u32 s8, s59, s8                                      // 0000000092DC: 8008083B
	s_addc_u32 s9, 0, s9                                       // 0000000092E0: 82090980
	s_addk_i32 s80, 0x100                                      // 0000000092E4: B7500100
	s_cmp_lt_i32 s80, s81                                      // 0000000092E8: BF045150
	s_cbranch_scc0 label_0E15                                  // 0000000092EC: BF84F4D9
	s_branch label_15A4                                        // 0000000092F0: BF82FC67

00000000000092f4 <label_193D>:
	s_cmp_ge_u32 s59, 0                                        // 0000000092F4: BF09803B
	s_cselect_b32 s59, 0x200, s59                              // 0000000092F8: 853B3BFF 00000200
	s_waitcnt lgkmcnt(0)                                       // 000000009300: BF8CC07F
	s_barrier                                                  // 000000009304: BF8A0000
	s_cmp_eq_u32 s64, 0x100                                    // 000000009308: BF06FF40 00000100
	s_cbranch_scc0 label_19B9                                  // 000000009310: BF840074
	ds_write_b64 v4, v[192:193] offset:20736                   // 000000009314: D89A5100 0000C004
	ds_write_b64 v4, v[194:195] offset:29440                   // 00000000931C: D89A7300 0000C204
	ds_write_b64 v4, v[196:197] offset:22912                   // 000000009324: D89A5980 0000C404
	ds_write_b64 v4, v[198:199] offset:31616                   // 00000000932C: D89A7B80 0000C604
	ds_write_b64 v4, v[200:201] offset:25088                   // 000000009334: D89A6200 0000C804
	ds_write_b64 v4, v[202:203] offset:33792                   // 00000000933C: D89A8400 0000CA04
	ds_write_b64 v4, v[204:205] offset:27264                   // 000000009344: D89A6A80 0000CC04
	ds_write_b64 v4, v[206:207] offset:35968                   // 00000000934C: D89A8C80 0000CE04
	s_waitcnt lgkmcnt(0)                                       // 000000009354: BF8CC07F
	s_barrier                                                  // 000000009358: BF8A0000
	ds_read_b32 v64, v5 offset:20736                           // 00000000935C: D86C5100 40000005
	ds_read_b32 v65, v5 offset:25088                           // 000000009364: D86C6200 41000005
	ds_read_b32 v66, v5 offset:20768                           // 00000000936C: D86C5120 42000005
	ds_read_b32 v67, v5 offset:25120                           // 000000009374: D86C6220 43000005
	ds_read_b32 v68, v5 offset:20800                           // 00000000937C: D86C5140 44000005
	ds_read_b32 v69, v5 offset:25152                           // 000000009384: D86C6240 45000005
	ds_read_b32 v70, v5 offset:20832                           // 00000000938C: D86C5160 46000005
	ds_read_b32 v71, v5 offset:25184                           // 000000009394: D86C6260 47000005
	ds_read_b32 v72, v5 offset:29440                           // 00000000939C: D86C7300 48000005
	ds_read_b32 v73, v5 offset:33792                           // 0000000093A4: D86C8400 49000005
	ds_read_b32 v74, v5 offset:29472                           // 0000000093AC: D86C7320 4A000005
	ds_read_b32 v75, v5 offset:33824                           // 0000000093B4: D86C8420 4B000005
	ds_read_b32 v76, v5 offset:29504                           // 0000000093BC: D86C7340 4C000005
	ds_read_b32 v77, v5 offset:33856                           // 0000000093C4: D86C8440 4D000005
	ds_read_b32 v78, v5 offset:29536                           // 0000000093CC: D86C7360 4E000005
	ds_read_b32 v79, v5 offset:33888                           // 0000000093D4: D86C8460 4F000005
	s_waitcnt lgkmcnt(0)                                       // 0000000093DC: BF8CC07F
	s_mov_b64 exec, s[20:21]                                   // 0000000093E0: BEFE0114
	global_atomic_pk_add_f16 v80, v64, s[8:9]                  // 0000000093E4: DD388000 00084050
	s_mov_b64 exec, s[36:37]                                   // 0000000093EC: BEFE0124
	s_mov_b64 exec, s[20:21]                                   // 0000000093F0: BEFE0114
	global_atomic_pk_add_f16 v80, v65, s[8:9] offset:256       // 0000000093F4: DD388100 00084150
	s_mov_b64 exec, s[36:37]                                   // 0000000093FC: BEFE0124
	s_mov_b64 exec, s[22:23]                                   // 000000009400: BEFE0116
	global_atomic_pk_add_f16 v82, v66, s[8:9]                  // 000000009404: DD388000 00084252
	s_mov_b64 exec, s[36:37]                                   // 00000000940C: BEFE0124
	s_mov_b64 exec, s[22:23]                                   // 000000009410: BEFE0116
	global_atomic_pk_add_f16 v82, v67, s[8:9] offset:256       // 000000009414: DD388100 00084352
	s_mov_b64 exec, s[36:37]                                   // 00000000941C: BEFE0124
	s_mov_b64 exec, s[24:25]                                   // 000000009420: BEFE0118
	global_atomic_pk_add_f16 v84, v68, s[8:9]                  // 000000009424: DD388000 00084454
	s_mov_b64 exec, s[36:37]                                   // 00000000942C: BEFE0124
	s_mov_b64 exec, s[24:25]                                   // 000000009430: BEFE0118
	global_atomic_pk_add_f16 v84, v69, s[8:9] offset:256       // 000000009434: DD388100 00084554
	s_mov_b64 exec, s[36:37]                                   // 00000000943C: BEFE0124
	s_mov_b64 exec, s[26:27]                                   // 000000009440: BEFE011A
	global_atomic_pk_add_f16 v86, v70, s[8:9]                  // 000000009444: DD388000 00084656
	s_mov_b64 exec, s[36:37]                                   // 00000000944C: BEFE0124
	s_mov_b64 exec, s[26:27]                                   // 000000009450: BEFE011A
	global_atomic_pk_add_f16 v86, v71, s[8:9] offset:256       // 000000009454: DD388100 00084756
	s_mov_b64 exec, s[36:37]                                   // 00000000945C: BEFE0124
	s_mov_b64 exec, s[28:29]                                   // 000000009460: BEFE011C
	global_atomic_pk_add_f16 v88, v72, s[8:9]                  // 000000009464: DD388000 00084858
	s_mov_b64 exec, s[36:37]                                   // 00000000946C: BEFE0124
	s_mov_b64 exec, s[28:29]                                   // 000000009470: BEFE011C
	global_atomic_pk_add_f16 v88, v73, s[8:9] offset:256       // 000000009474: DD388100 00084958
	s_mov_b64 exec, s[36:37]                                   // 00000000947C: BEFE0124
	s_mov_b64 exec, s[30:31]                                   // 000000009480: BEFE011E
	global_atomic_pk_add_f16 v90, v74, s[8:9]                  // 000000009484: DD388000 00084A5A
	s_mov_b64 exec, s[36:37]                                   // 00000000948C: BEFE0124
	s_mov_b64 exec, s[30:31]                                   // 000000009490: BEFE011E
	global_atomic_pk_add_f16 v90, v75, s[8:9] offset:256       // 000000009494: DD388100 00084B5A
	s_mov_b64 exec, s[36:37]                                   // 00000000949C: BEFE0124
	s_mov_b64 exec, s[32:33]                                   // 0000000094A0: BEFE0120
	global_atomic_pk_add_f16 v92, v76, s[8:9]                  // 0000000094A4: DD388000 00084C5C
	s_mov_b64 exec, s[36:37]                                   // 0000000094AC: BEFE0124
	s_mov_b64 exec, s[32:33]                                   // 0000000094B0: BEFE0120
	global_atomic_pk_add_f16 v92, v77, s[8:9] offset:256       // 0000000094B4: DD388100 00084D5C
	s_mov_b64 exec, s[36:37]                                   // 0000000094BC: BEFE0124
	s_mov_b64 exec, s[34:35]                                   // 0000000094C0: BEFE0122
	global_atomic_pk_add_f16 v94, v78, s[8:9]                  // 0000000094C4: DD388000 00084E5E
	s_mov_b64 exec, s[36:37]                                   // 0000000094CC: BEFE0124
	s_mov_b64 exec, s[34:35]                                   // 0000000094D0: BEFE0122
	global_atomic_pk_add_f16 v94, v79, s[8:9] offset:256       // 0000000094D4: DD388100 00084F5E
	s_mov_b64 exec, s[36:37]                                   // 0000000094DC: BEFE0124
	s_branch label_1A8F                                        // 0000000094E0: BF8200D6

00000000000094e4 <label_19B9>:
	ds_read_b32 v64, v5 offset:20736                           // 0000000094E4: D86C5100 40000005
	ds_read_b32 v65, v5 offset:25088                           // 0000000094EC: D86C6200 41000005
	ds_read_b32 v66, v5 offset:20768                           // 0000000094F4: D86C5120 42000005
	ds_read_b32 v67, v5 offset:25120                           // 0000000094FC: D86C6220 43000005
	ds_read_b32 v68, v5 offset:20800                           // 000000009504: D86C5140 44000005
	ds_read_b32 v69, v5 offset:25152                           // 00000000950C: D86C6240 45000005
	ds_read_b32 v70, v5 offset:20832                           // 000000009514: D86C5160 46000005
	ds_read_b32 v71, v5 offset:25184                           // 00000000951C: D86C6260 47000005
	ds_read_b32 v72, v5 offset:29440                           // 000000009524: D86C7300 48000005
	ds_read_b32 v73, v5 offset:33792                           // 00000000952C: D86C8400 49000005
	ds_read_b32 v74, v5 offset:29472                           // 000000009534: D86C7320 4A000005
	ds_read_b32 v75, v5 offset:33824                           // 00000000953C: D86C8420 4B000005
	ds_read_b32 v76, v5 offset:29504                           // 000000009544: D86C7340 4C000005
	ds_read_b32 v77, v5 offset:33856                           // 00000000954C: D86C8440 4D000005
	ds_read_b32 v78, v5 offset:29536                           // 000000009554: D86C7360 4E000005
	ds_read_b32 v79, v5 offset:33888                           // 00000000955C: D86C8460 4F000005
	s_waitcnt lgkmcnt(0)                                       // 000000009564: BF8CC07F
	s_mov_b64 exec, s[20:21]                                   // 000000009568: BEFE0114
	global_atomic_pk_add_f16 v80, v64, s[8:9]                  // 00000000956C: DD388000 00084050
	s_mov_b64 exec, s[36:37]                                   // 000000009574: BEFE0124
	s_mov_b64 exec, s[20:21]                                   // 000000009578: BEFE0114
	global_atomic_pk_add_f16 v80, v65, s[8:9] offset:256       // 00000000957C: DD388100 00084150
	s_mov_b64 exec, s[36:37]                                   // 000000009584: BEFE0124
	s_mov_b64 exec, s[22:23]                                   // 000000009588: BEFE0116
	global_atomic_pk_add_f16 v82, v66, s[8:9]                  // 00000000958C: DD388000 00084252
	s_mov_b64 exec, s[36:37]                                   // 000000009594: BEFE0124
	s_mov_b64 exec, s[22:23]                                   // 000000009598: BEFE0116
	global_atomic_pk_add_f16 v82, v67, s[8:9] offset:256       // 00000000959C: DD388100 00084352
	s_mov_b64 exec, s[36:37]                                   // 0000000095A4: BEFE0124
	s_mov_b64 exec, s[24:25]                                   // 0000000095A8: BEFE0118
	global_atomic_pk_add_f16 v84, v68, s[8:9]                  // 0000000095AC: DD388000 00084454
	s_mov_b64 exec, s[36:37]                                   // 0000000095B4: BEFE0124
	s_mov_b64 exec, s[24:25]                                   // 0000000095B8: BEFE0118
	global_atomic_pk_add_f16 v84, v69, s[8:9] offset:256       // 0000000095BC: DD388100 00084554
	s_mov_b64 exec, s[36:37]                                   // 0000000095C4: BEFE0124
	s_mov_b64 exec, s[26:27]                                   // 0000000095C8: BEFE011A
	global_atomic_pk_add_f16 v86, v70, s[8:9]                  // 0000000095CC: DD388000 00084656
	s_mov_b64 exec, s[36:37]                                   // 0000000095D4: BEFE0124
	s_mov_b64 exec, s[26:27]                                   // 0000000095D8: BEFE011A
	global_atomic_pk_add_f16 v86, v71, s[8:9] offset:256       // 0000000095DC: DD388100 00084756
	s_mov_b64 exec, s[36:37]                                   // 0000000095E4: BEFE0124
	s_mov_b64 exec, s[28:29]                                   // 0000000095E8: BEFE011C
	global_atomic_pk_add_f16 v88, v72, s[8:9]                  // 0000000095EC: DD388000 00084858
	s_mov_b64 exec, s[36:37]                                   // 0000000095F4: BEFE0124
	s_mov_b64 exec, s[28:29]                                   // 0000000095F8: BEFE011C
	global_atomic_pk_add_f16 v88, v73, s[8:9] offset:256       // 0000000095FC: DD388100 00084958
	s_mov_b64 exec, s[36:37]                                   // 000000009604: BEFE0124
	s_mov_b64 exec, s[30:31]                                   // 000000009608: BEFE011E
	global_atomic_pk_add_f16 v90, v74, s[8:9]                  // 00000000960C: DD388000 00084A5A
	s_mov_b64 exec, s[36:37]                                   // 000000009614: BEFE0124
	s_mov_b64 exec, s[30:31]                                   // 000000009618: BEFE011E
	global_atomic_pk_add_f16 v90, v75, s[8:9] offset:256       // 00000000961C: DD388100 00084B5A
	s_mov_b64 exec, s[36:37]                                   // 000000009624: BEFE0124
	s_mov_b64 exec, s[32:33]                                   // 000000009628: BEFE0120
	global_atomic_pk_add_f16 v92, v76, s[8:9]                  // 00000000962C: DD388000 00084C5C
	s_mov_b64 exec, s[36:37]                                   // 000000009634: BEFE0124
	s_mov_b64 exec, s[32:33]                                   // 000000009638: BEFE0120
	global_atomic_pk_add_f16 v92, v77, s[8:9] offset:256       // 00000000963C: DD388100 00084D5C
	s_mov_b64 exec, s[36:37]                                   // 000000009644: BEFE0124
	s_mov_b64 exec, s[34:35]                                   // 000000009648: BEFE0122
	global_atomic_pk_add_f16 v94, v78, s[8:9]                  // 00000000964C: DD388000 00084E5E
	s_mov_b64 exec, s[36:37]                                   // 000000009654: BEFE0124
	s_mov_b64 exec, s[34:35]                                   // 000000009658: BEFE0122
	global_atomic_pk_add_f16 v94, v79, s[8:9] offset:256       // 00000000965C: DD388100 00084F5E
	s_mov_b64 exec, s[36:37]                                   // 000000009664: BEFE0124
	s_add_u32 s8, s59, s8                                      // 000000009668: 8008083B
	s_addc_u32 s9, 0, s9                                       // 00000000966C: 82090980
	ds_write_b64 v4, v[224:225] offset:38144                   // 000000009670: D89A9500 0000E004
	ds_write_b64 v4, v[226:227] offset:46848                   // 000000009678: D89AB700 0000E204
	ds_write_b64 v4, v[228:229] offset:40320                   // 000000009680: D89A9D80 0000E404
	ds_write_b64 v4, v[230:231] offset:49024                   // 000000009688: D89ABF80 0000E604
	ds_write_b64 v4, v[232:233] offset:42496                   // 000000009690: D89AA600 0000E804
	ds_write_b64 v4, v[234:235] offset:51200                   // 000000009698: D89AC800 0000EA04
	ds_write_b64 v4, v[236:237] offset:44672                   // 0000000096A0: D89AAE80 0000EC04
	ds_write_b64 v4, v[238:239] offset:53376                   // 0000000096A8: D89AD080 0000EE04
	s_waitcnt lgkmcnt(0)                                       // 0000000096B0: BF8CC07F
	s_barrier                                                  // 0000000096B4: BF8A0000
	ds_read_b32 v64, v5 offset:38144                           // 0000000096B8: D86C9500 40000005
	ds_read_b32 v65, v5 offset:42496                           // 0000000096C0: D86CA600 41000005
	ds_read_b32 v66, v5 offset:38176                           // 0000000096C8: D86C9520 42000005
	ds_read_b32 v67, v5 offset:42528                           // 0000000096D0: D86CA620 43000005
	ds_read_b32 v68, v5 offset:38208                           // 0000000096D8: D86C9540 44000005
	ds_read_b32 v69, v5 offset:42560                           // 0000000096E0: D86CA640 45000005
	ds_read_b32 v70, v5 offset:38240                           // 0000000096E8: D86C9560 46000005
	ds_read_b32 v71, v5 offset:42592                           // 0000000096F0: D86CA660 47000005
	ds_read_b32 v72, v5 offset:46848                           // 0000000096F8: D86CB700 48000005
	ds_read_b32 v73, v5 offset:51200                           // 000000009700: D86CC800 49000005
	ds_read_b32 v74, v5 offset:46880                           // 000000009708: D86CB720 4A000005
	ds_read_b32 v75, v5 offset:51232                           // 000000009710: D86CC820 4B000005
	ds_read_b32 v76, v5 offset:46912                           // 000000009718: D86CB740 4C000005
	ds_read_b32 v77, v5 offset:51264                           // 000000009720: D86CC840 4D000005
	ds_read_b32 v78, v5 offset:46944                           // 000000009728: D86CB760 4E000005
	ds_read_b32 v79, v5 offset:51296                           // 000000009730: D86CC860 4F000005
	s_waitcnt lgkmcnt(0)                                       // 000000009738: BF8CC07F
	s_mov_b64 exec, s[20:21]                                   // 00000000973C: BEFE0114
	global_atomic_pk_add_f16 v80, v64, s[8:9]                  // 000000009740: DD388000 00084050
	s_mov_b64 exec, s[36:37]                                   // 000000009748: BEFE0124
	s_mov_b64 exec, s[20:21]                                   // 00000000974C: BEFE0114
	global_atomic_pk_add_f16 v80, v65, s[8:9] offset:256       // 000000009750: DD388100 00084150
	s_mov_b64 exec, s[36:37]                                   // 000000009758: BEFE0124
	s_mov_b64 exec, s[22:23]                                   // 00000000975C: BEFE0116
	global_atomic_pk_add_f16 v82, v66, s[8:9]                  // 000000009760: DD388000 00084252
	s_mov_b64 exec, s[36:37]                                   // 000000009768: BEFE0124
	s_mov_b64 exec, s[22:23]                                   // 00000000976C: BEFE0116
	global_atomic_pk_add_f16 v82, v67, s[8:9] offset:256       // 000000009770: DD388100 00084352
	s_mov_b64 exec, s[36:37]                                   // 000000009778: BEFE0124
	s_mov_b64 exec, s[24:25]                                   // 00000000977C: BEFE0118
	global_atomic_pk_add_f16 v84, v68, s[8:9]                  // 000000009780: DD388000 00084454
	s_mov_b64 exec, s[36:37]                                   // 000000009788: BEFE0124
	s_mov_b64 exec, s[24:25]                                   // 00000000978C: BEFE0118
	global_atomic_pk_add_f16 v84, v69, s[8:9] offset:256       // 000000009790: DD388100 00084554
	s_mov_b64 exec, s[36:37]                                   // 000000009798: BEFE0124
	s_mov_b64 exec, s[26:27]                                   // 00000000979C: BEFE011A
	global_atomic_pk_add_f16 v86, v70, s[8:9]                  // 0000000097A0: DD388000 00084656
	s_mov_b64 exec, s[36:37]                                   // 0000000097A8: BEFE0124
	s_mov_b64 exec, s[26:27]                                   // 0000000097AC: BEFE011A
	global_atomic_pk_add_f16 v86, v71, s[8:9] offset:256       // 0000000097B0: DD388100 00084756
	s_mov_b64 exec, s[36:37]                                   // 0000000097B8: BEFE0124
	s_mov_b64 exec, s[28:29]                                   // 0000000097BC: BEFE011C
	global_atomic_pk_add_f16 v88, v72, s[8:9]                  // 0000000097C0: DD388000 00084858
	s_mov_b64 exec, s[36:37]                                   // 0000000097C8: BEFE0124
	s_mov_b64 exec, s[28:29]                                   // 0000000097CC: BEFE011C
	global_atomic_pk_add_f16 v88, v73, s[8:9] offset:256       // 0000000097D0: DD388100 00084958
	s_mov_b64 exec, s[36:37]                                   // 0000000097D8: BEFE0124
	s_mov_b64 exec, s[30:31]                                   // 0000000097DC: BEFE011E
	global_atomic_pk_add_f16 v90, v74, s[8:9]                  // 0000000097E0: DD388000 00084A5A
	s_mov_b64 exec, s[36:37]                                   // 0000000097E8: BEFE0124
	s_mov_b64 exec, s[30:31]                                   // 0000000097EC: BEFE011E
	global_atomic_pk_add_f16 v90, v75, s[8:9] offset:256       // 0000000097F0: DD388100 00084B5A
	s_mov_b64 exec, s[36:37]                                   // 0000000097F8: BEFE0124
	s_mov_b64 exec, s[32:33]                                   // 0000000097FC: BEFE0120
	global_atomic_pk_add_f16 v92, v76, s[8:9]                  // 000000009800: DD388000 00084C5C
	s_mov_b64 exec, s[36:37]                                   // 000000009808: BEFE0124
	s_mov_b64 exec, s[32:33]                                   // 00000000980C: BEFE0120
	global_atomic_pk_add_f16 v92, v77, s[8:9] offset:256       // 000000009810: DD388100 00084D5C
	s_mov_b64 exec, s[36:37]                                   // 000000009818: BEFE0124
	s_mov_b64 exec, s[34:35]                                   // 00000000981C: BEFE0122
	global_atomic_pk_add_f16 v94, v78, s[8:9]                  // 000000009820: DD388000 00084E5E
	s_mov_b64 exec, s[36:37]                                   // 000000009828: BEFE0124
	s_mov_b64 exec, s[34:35]                                   // 00000000982C: BEFE0122
	global_atomic_pk_add_f16 v94, v79, s[8:9] offset:256       // 000000009830: DD388100 00084F5E
	s_mov_b64 exec, s[36:37]                                   // 000000009838: BEFE0124

000000000000983c <label_1A8F>:
	s_waitcnt vmcnt(0) expcnt(0) lgkmcnt(0)                    // 00000000983C: BF8C0000
	s_add_u32 s100, s100, 1                                    // 000000009840: 80648164
	s_cmp_eq_u32 s96, 0                                        // 000000009844: BF068060
	s_cbranch_scc0 label_0039                                  // 000000009848: BF84E5A6

000000000000984c <label_1A93>:
	s_waitcnt vmcnt(0) expcnt(0) lgkmcnt(0)                    // 00000000984C: BF8C0000
	s_endpgm                                                   // 000000009850: BF810000
